;; amdgpu-corpus repo=ROCm/Tensile kind=harvested arch=n/a opt=n/a

/******************************************/
/* Function Prefix                        */
/******************************************/



/******************************************/
/* Begin Kernel                           */
/******************************************/

// Component.Signature.SignatureDefault
.amdgcn_target "amdgcn-amd-amdhsa--gfx942"
.text
.protected Cijk_Alik_Bljk_BBS_BH_MT256x256x32_MI32x32x8x1_SN_1LDSB1_APM1_AF0EM8_AF1EM8_AMAS3_ASE_ASGT3128_ASLT_ASM_ASAE01_ASCE01_ASEM1_BL1_BS1_CLR0_DTVA0_DTVB0_ETSP_EPS1_ELFLR4_EMLL0_FSSC10_FL0_GLVWA8_GLVWB8_GRCGA1_GRPM1_GRVW8_GSU1_GSUASB_GLS1_IU1_K1_LBSPPA128_LBSPPB128_LPA8_LPB8_LRVW8_LWPMn1_MIAV0_MKFGSU256_NTA0_NTB0_NTC0_NTD0_NEPBS16_NLCA1_NLCB1_ONLL1_PGR2_PLR5_PKA0_SIA3_SLW1_SS1_SU8_SUM0_SUS128_SPO0_SRVW0_SSO4_SVW2_TSGRA0_TSGRB0_TT4_128_TLDS1_UMLDSA1_UMLDSB1_USFGROn1_VAW1_VSn1_VW2_VWB1_VFLRP0_WSGRA1_WSGRB0_WG64_4_1_WGM30
.globl Cijk_Alik_Bljk_BBS_BH_MT256x256x32_MI32x32x8x1_SN_1LDSB1_APM1_AF0EM8_AF1EM8_AMAS3_ASE_ASGT3128_ASLT_ASM_ASAE01_ASCE01_ASEM1_BL1_BS1_CLR0_DTVA0_DTVB0_ETSP_EPS1_ELFLR4_EMLL0_FSSC10_FL0_GLVWA8_GLVWB8_GRCGA1_GRPM1_GRVW8_GSU1_GSUASB_GLS1_IU1_K1_LBSPPA128_LBSPPB128_LPA8_LPB8_LRVW8_LWPMn1_MIAV0_MKFGSU256_NTA0_NTB0_NTC0_NTD0_NEPBS16_NLCA1_NLCB1_ONLL1_PGR2_PLR5_PKA0_SIA3_SLW1_SS1_SU8_SUM0_SUS128_SPO0_SRVW0_SSO4_SVW2_TSGRA0_TSGRB0_TT4_128_TLDS1_UMLDSA1_UMLDSB1_USFGROn1_VAW1_VSn1_VW2_VWB1_VFLRP0_WSGRA1_WSGRB0_WG64_4_1_WGM30
.p2align 8
.type Cijk_Alik_Bljk_BBS_BH_MT256x256x32_MI32x32x8x1_SN_1LDSB1_APM1_AF0EM8_AF1EM8_AMAS3_ASE_ASGT3128_ASLT_ASM_ASAE01_ASCE01_ASEM1_BL1_BS1_CLR0_DTVA0_DTVB0_ETSP_EPS1_ELFLR4_EMLL0_FSSC10_FL0_GLVWA8_GLVWB8_GRCGA1_GRPM1_GRVW8_GSU1_GSUASB_GLS1_IU1_K1_LBSPPA128_LBSPPB128_LPA8_LPB8_LRVW8_LWPMn1_MIAV0_MKFGSU256_NTA0_NTB0_NTC0_NTD0_NEPBS16_NLCA1_NLCB1_ONLL1_PGR2_PLR5_PKA0_SIA3_SLW1_SS1_SU8_SUM0_SUS128_SPO0_SRVW0_SSO4_SVW2_TSGRA0_TSGRB0_TT4_128_TLDS1_UMLDSA1_UMLDSB1_USFGROn1_VAW1_VSn1_VW2_VWB1_VFLRP0_WSGRA1_WSGRB0_WG64_4_1_WGM30,@function
.section .rodata,#alloc
.p2align 6
.amdhsa_kernel Cijk_Alik_Bljk_BBS_BH_MT256x256x32_MI32x32x8x1_SN_1LDSB1_APM1_AF0EM8_AF1EM8_AMAS3_ASE_ASGT3128_ASLT_ASM_ASAE01_ASCE01_ASEM1_BL1_BS1_CLR0_DTVA0_DTVB0_ETSP_EPS1_ELFLR4_EMLL0_FSSC10_FL0_GLVWA8_GLVWB8_GRCGA1_GRPM1_GRVW8_GSU1_GSUASB_GLS1_IU1_K1_LBSPPA128_LBSPPB128_LPA8_LPB8_LRVW8_LWPMn1_MIAV0_MKFGSU256_NTA0_NTB0_NTC0_NTD0_NEPBS16_NLCA1_NLCB1_ONLL1_PGR2_PLR5_PKA0_SIA3_SLW1_SS1_SU8_SUM0_SUS128_SPO0_SRVW0_SSO4_SVW2_TSGRA0_TSGRB0_TT4_128_TLDS1_UMLDSA1_UMLDSB1_USFGROn1_VAW1_VSn1_VW2_VWB1_VFLRP0_WSGRA1_WSGRB0_WG64_4_1_WGM30
  .amdhsa_user_sgpr_kernarg_segment_ptr 1
  .amdhsa_user_sgpr_kernarg_preload_offset 0
  .amdhsa_user_sgpr_kernarg_preload_length 0
  .amdhsa_user_sgpr_count 2
  .amdhsa_accum_offset 256 // accvgpr offset
  .amdhsa_next_free_vgpr 512 // vgprs
  .amdhsa_next_free_sgpr 69 // sgprs
  .amdhsa_group_segment_fixed_size 36864 // lds bytes
  .amdhsa_private_segment_fixed_size 0
  .amdhsa_system_sgpr_workgroup_id_x 1
  .amdhsa_system_sgpr_workgroup_id_y 1
  .amdhsa_system_sgpr_workgroup_id_z 1
  .amdhsa_system_vgpr_workitem_id 0
  .amdhsa_float_denorm_mode_32 3
  .amdhsa_float_denorm_mode_16_64 3
.end_amdhsa_kernel
.text

/******************************************/
/* Optimizations and Config:              */
/******************************************/
/* ThreadTile= 64 x 4 */
/* SubGroup= 4 x 64 */
/* VectorWidthA=2 */
/* VectorWidthB=1 */
/* GlobalLoadVectorWidthA=8, GlobalLoadVectorWidthB=8 */
/* DirectToLdsA=False */
/* DirectToLdsB=False */
/* UseSgprForGRO=1 */
.amdgpu_metadata
---
amdhsa.version:
  - 1
  - 1
amdhsa.target: amdgcn-amd-amdhsa--gfx942
amdhsa.kernels:
  - .name: Cijk_Alik_Bljk_BBS_BH_MT256x256x32_MI32x32x8x1_SN_1LDSB1_APM1_AF0EM8_AF1EM8_AMAS3_ASE_ASGT3128_ASLT_ASM_ASAE01_ASCE01_ASEM1_BL1_BS1_CLR0_DTVA0_DTVB0_ETSP_EPS1_ELFLR4_EMLL0_FSSC10_FL0_GLVWA8_GLVWB8_GRCGA1_GRPM1_GRVW8_GSU1_GSUASB_GLS1_IU1_K1_LBSPPA128_LBSPPB128_LPA8_LPB8_LRVW8_LWPMn1_MIAV0_MKFGSU256_NTA0_NTB0_NTC0_NTD0_NEPBS16_NLCA1_NLCB1_ONLL1_PGR2_PLR5_PKA0_SIA3_SLW1_SS1_SU8_SUM0_SUS128_SPO0_SRVW0_SSO4_SVW2_TSGRA0_TSGRB0_TT4_128_TLDS1_UMLDSA1_UMLDSB1_USFGROn1_VAW1_VSn1_VW2_VWB1_VFLRP0_WSGRA1_WSGRB0_WG64_4_1_WGM30
    .symbol: 'Cijk_Alik_Bljk_BBS_BH_MT256x256x32_MI32x32x8x1_SN_1LDSB1_APM1_AF0EM8_AF1EM8_AMAS3_ASE_ASGT3128_ASLT_ASM_ASAE01_ASCE01_ASEM1_BL1_BS1_CLR0_DTVA0_DTVB0_ETSP_EPS1_ELFLR4_EMLL0_FSSC10_FL0_GLVWA8_GLVWB8_GRCGA1_GRPM1_GRVW8_GSU1_GSUASB_GLS1_IU1_K1_LBSPPA128_LBSPPB128_LPA8_LPB8_LRVW8_LWPMn1_MIAV0_MKFGSU256_NTA0_NTB0_NTC0_NTD0_NEPBS16_NLCA1_NLCB1_ONLL1_PGR2_PLR5_PKA0_SIA3_SLW1_SS1_SU8_SUM0_SUS128_SPO0_SRVW0_SSO4_SVW2_TSGRA0_TSGRB0_TT4_128_TLDS1_UMLDSA1_UMLDSB1_USFGROn1_VAW1_VSn1_VW2_VWB1_VFLRP0_WSGRA1_WSGRB0_WG64_4_1_WGM30.kd'
    .language:                   OpenCL C
    .language_version:
      - 2
      - 0
    .args:
      - .name:            Tensor2dSizeA
        .size:            8
        .offset:          0
        .value_kind:      by_value
        .value_type:      u64
      - .name:            Tensor2dSizeB
        .size:            8
        .offset:          8
        .value_kind:      by_value
        .value_type:      u64
      - .name:            AddressD
        .size:            8
        .offset:          16
        .value_kind:      by_value
        .value_type:      u64
      - .name:            AddressC
        .size:            8
        .offset:          24
        .value_kind:      by_value
        .value_type:      u64
      - .name:            AddressA
        .size:            8
        .offset:          32
        .value_kind:      by_value
        .value_type:      u64
      - .name:            AddressB
        .size:            8
        .offset:          40
        .value_kind:      by_value
        .value_type:      u64
      - .name:            Alpha
        .size:            4
        .offset:          48
        .value_kind:      by_value
        .value_type:      u32
      - .name:            Beta
        .size:            4
        .offset:          52
        .value_kind:      by_value
        .value_type:      u32
      - .name:            StridesD
        .size:            8
        .offset:          56
        .value_kind:      by_value
        .value_type:      u64
      - .name:            StridesC
        .size:            8
        .offset:          64
        .value_kind:      by_value
        .value_type:      u64
      - .name:            StridesA
        .size:            8
        .offset:          72
        .value_kind:      by_value
        .value_type:      u64
      - .name:            StridesB
        .size:            8
        .offset:          80
        .value_kind:      by_value
        .value_type:      u64
      - .name:            SizesFree
        .size:            12
        .offset:          88
        .value_kind:      by_value
        .value_type:      u96
      - .name:            SizesSum
        .size:            4
        .offset:          100
        .value_kind:      by_value
        .value_type:      u32
      - .name:            OrigStaggerUIter
        .size:            4
        .offset:          104
        .value_kind:      by_value
        .value_type:      u32
      - .name:            NumWorkGroups0
        .size:            4
        .offset:          108
        .value_kind:      by_value
        .value_type:      u32
      - .name:            NumWorkGroups1
        .size:            4
        .offset:          112
        .value_kind:      by_value
        .value_type:      u32
      - .name:            NumFullBlocks
        .size:            4
        .offset:          116
        .value_kind:      by_value
        .value_type:      u32
      - .name:            WgmRemainder1
        .size:            4
        .offset:          120
        .value_kind:      by_value
        .value_type:      u32
      - .name:            MagicNumberWgmRemainder1
        .size:            4
        .offset:          124
        .value_kind:      by_value
        .value_type:      u32
    .group_segment_fixed_size:   36864
    .kernarg_segment_align:      8
    .kernarg_segment_size:       128
    .max_flat_workgroup_size:    256
    .private_segment_fixed_size: 0
    .sgpr_count:                 69
    .sgpr_spill_count:           0
    .vgpr_count:                 256
    .vgpr_spill_count:           0
    .wavefront_size:             64
...
.end_amdgpu_metadata
Cijk_Alik_Bljk_BBS_BH_MT256x256x32_MI32x32x8x1_SN_1LDSB1_APM1_AF0EM8_AF1EM8_AMAS3_ASE_ASGT3128_ASLT_ASM_ASAE01_ASCE01_ASEM1_BL1_BS1_CLR0_DTVA0_DTVB0_ETSP_EPS1_ELFLR4_EMLL0_FSSC10_FL0_GLVWA8_GLVWB8_GRCGA1_GRPM1_GRVW8_GSU1_GSUASB_GLS1_IU1_K1_LBSPPA128_LBSPPB128_LPA8_LPB8_LRVW8_LWPMn1_MIAV0_MKFGSU256_NTA0_NTB0_NTC0_NTD0_NEPBS16_NLCA1_NLCB1_ONLL1_PGR2_PLR5_PKA0_SIA3_SLW1_SS1_SU8_SUM0_SUS128_SPO0_SRVW0_SSO4_SVW2_TSGRA0_TSGRB0_TT4_128_TLDS1_UMLDSA1_UMLDSB1_USFGROn1_VAW1_VSn1_VW2_VWB1_VFLRP0_WSGRA1_WSGRB0_WG64_4_1_WGM30:

/******************************************/
/* Asm syntax workarounds                 */
/******************************************/
.macro _v_add_co_u32 dst:req, cc:req, src0:req, src1:req, dpp=
   v_add_co_u32 \dst, \cc, \src0, \src1 \dpp
.endm

.macro _v_add_u32 dst:req, src0:req, src1:req, dpp=
   v_add_u32 \dst, \src0, \src1 \dpp
.endm

.macro _v_add_i32 dst:req, src0:req, src1:req, dpp=
   v_add_i32 \dst, \src0, \src1 \dpp
.endm

.macro _v_addc_co_u32 dst:req, ccOut:req, src0:req, ccIn:req, src1:req, dpp=
   v_addc_co_u32 \dst, \ccOut, \src0, \ccIn, \src1 \dpp
.endm

.macro _v_sub_co_u32 dst:req, cc:req, src0:req, src1:req, dpp=
   v_sub_co_u32 \dst, \cc, \src0, \src1 \dpp
.endm

.macro _v_sub_u32 dst:req, src0:req, src1:req, dpp=
   v_sub_u32 \dst, \src0, \src1 \dpp
.endm

.macro _v_sub_i32 dst:req, src0:req, src1:req, dpp=
   v_sub_i32 \dst, \src0, \src1 \dpp
.endm

.macro _v_add_lshl_u32 dst:req, src0:req, src1:req, shiftCnt:req
    v_add_lshl_u32 \dst, \src0, \src1, \shiftCnt
.endm

.macro _v_lshl_add_u32 dst:req, src0:req, src1:req, shiftCnt:req
    v_lshl_add_u32 \dst, \src0, \src1, \shiftCnt
.endm

.macro _v_lshl_or_b32 dst:req, src0:req, shiftCnt:req, src1:req
    v_lshl_or_b32 \dst, \src0, \shiftCnt, \src1
.endm

.macro _v_dot2acc_f32_f16 dst, src0, src1
v_dot2c_f32_f16 \dst, \src0, \src1
.endm

.macro _v_cmpx_lt_i16 dst, src0, src1=
   v_cmpx_lt_i16 \dst, \src0, \src1 
.endm

.macro _v_cmpx_lt_i32 dst, src0, src1=
   v_cmpx_lt_i32 \dst, \src0, \src1 
.endm

.macro _v_cmpx_lt_i64 dst, src0, src1=
   v_cmpx_lt_i64 \dst, \src0, \src1 
.endm

.macro _v_cmpx_lt_u16 dst, src0, src1=
   v_cmpx_lt_u16 \dst, \src0, \src1 
.endm

.macro _v_cmpx_lt_u32 dst, src0, src1=
   v_cmpx_lt_u32 \dst, \src0, \src1 
.endm

.macro _v_cmpx_lt_u64 dst, src0, src1=
   v_cmpx_lt_u64 \dst, \src0, \src1 
.endm

.macro _v_cmpx_eq_i16 dst, src0, src1=
   v_cmpx_eq_i16 \dst, \src0, \src1 
.endm

.macro _v_cmpx_eq_i32 dst, src0, src1=
   v_cmpx_eq_i32 \dst, \src0, \src1 
.endm

.macro _v_cmpx_eq_i64 dst, src0, src1=
   v_cmpx_eq_i64 \dst, \src0, \src1 
.endm

.macro _v_cmpx_eq_u16 dst, src0, src1=
   v_cmpx_eq_u16 \dst, \src0, \src1 
.endm

.macro _v_cmpx_eq_u32 dst, src0, src1=
   v_cmpx_eq_u32 \dst, \src0, \src1 
.endm

.macro _v_cmpx_eq_u64 dst, src0, src1=
   v_cmpx_eq_u64 \dst, \src0, \src1 
.endm

.macro _v_cmpx_le_i16 dst, src0, src1=
   v_cmpx_le_i16 \dst, \src0, \src1 
.endm

.macro _v_cmpx_le_i32 dst, src0, src1=
   v_cmpx_le_i32 \dst, \src0, \src1 
.endm

.macro _v_cmpx_le_i64 dst, src0, src1=
   v_cmpx_le_i64 \dst, \src0, \src1 
.endm

.macro _v_cmpx_le_u16 dst, src0, src1=
   v_cmpx_le_u16 \dst, \src0, \src1 
.endm

.macro _v_cmpx_le_u32 dst, src0, src1=
   v_cmpx_le_u32 \dst, \src0, \src1 
.endm

.macro _v_cmpx_le_u64 dst, src0, src1=
   v_cmpx_le_u64 \dst, \src0, \src1 
.endm

.macro _v_cmpx_gt_i16 dst, src0, src1=
   v_cmpx_gt_i16 \dst, \src0, \src1 
.endm

.macro _v_cmpx_gt_i32 dst, src0, src1=
   v_cmpx_gt_i32 \dst, \src0, \src1 
.endm

.macro _v_cmpx_gt_i64 dst, src0, src1=
   v_cmpx_gt_i64 \dst, \src0, \src1 
.endm

.macro _v_cmpx_gt_u16 dst, src0, src1=
   v_cmpx_gt_u16 \dst, \src0, \src1 
.endm

.macro _v_cmpx_gt_u32 dst, src0, src1=
   v_cmpx_gt_u32 \dst, \src0, \src1 
.endm

.macro _v_cmpx_gt_u64 dst, src0, src1=
   v_cmpx_gt_u64 \dst, \src0, \src1 
.endm

.macro _v_cmpx_ne_i16 dst, src0, src1=
   v_cmpx_ne_i16 \dst, \src0, \src1 
.endm

.macro _v_cmpx_ne_i32 dst, src0, src1=
   v_cmpx_ne_i32 \dst, \src0, \src1 
.endm

.macro _v_cmpx_ne_i64 dst, src0, src1=
   v_cmpx_ne_i64 \dst, \src0, \src1 
.endm

.macro _v_cmpx_ne_u16 dst, src0, src1=
   v_cmpx_ne_u16 \dst, \src0, \src1 
.endm

.macro _v_cmpx_ne_u32 dst, src0, src1=
   v_cmpx_ne_u32 \dst, \src0, \src1 
.endm

.macro _v_cmpx_ne_u64 dst, src0, src1=
   v_cmpx_ne_u64 \dst, \src0, \src1 
.endm

.macro _v_cmpx_lg_i16 dst, src0, src1=
   v_cmpx_lg_i16 \dst, \src0, \src1 
.endm

.macro _v_cmpx_lg_i32 dst, src0, src1=
   v_cmpx_lg_i32 \dst, \src0, \src1 
.endm

.macro _v_cmpx_lg_i64 dst, src0, src1=
   v_cmpx_lg_i64 \dst, \src0, \src1 
.endm

.macro _v_cmpx_lg_u16 dst, src0, src1=
   v_cmpx_lg_u16 \dst, \src0, \src1 
.endm

.macro _v_cmpx_lg_u32 dst, src0, src1=
   v_cmpx_lg_u32 \dst, \src0, \src1 
.endm

.macro _v_cmpx_lg_u64 dst, src0, src1=
   v_cmpx_lg_u64 \dst, \src0, \src1 
.endm

.macro _v_cmpx_ge_i16 dst, src0, src1=
   v_cmpx_ge_i16 \dst, \src0, \src1 
.endm

.macro _v_cmpx_ge_i32 dst, src0, src1=
   v_cmpx_ge_i32 \dst, \src0, \src1 
.endm

.macro _v_cmpx_ge_i64 dst, src0, src1=
   v_cmpx_ge_i64 \dst, \src0, \src1 
.endm

.macro _v_cmpx_ge_u16 dst, src0, src1=
   v_cmpx_ge_u16 \dst, \src0, \src1 
.endm

.macro _v_cmpx_ge_u32 dst, src0, src1=
   v_cmpx_ge_u32 \dst, \src0, \src1 
.endm

.macro _v_cmpx_ge_u64 dst, src0, src1=
   v_cmpx_ge_u64 \dst, \src0, \src1 
.endm

.macro _v_cmpx_o_i16 dst, src0, src1=
   v_cmpx_o_i16 \dst, \src0, \src1 
.endm

.macro _v_cmpx_o_i32 dst, src0, src1=
   v_cmpx_o_i32 \dst, \src0, \src1 
.endm

.macro _v_cmpx_o_i64 dst, src0, src1=
   v_cmpx_o_i64 \dst, \src0, \src1 
.endm

.macro _v_cmpx_o_u16 dst, src0, src1=
   v_cmpx_o_u16 \dst, \src0, \src1 
.endm

.macro _v_cmpx_o_u32 dst, src0, src1=
   v_cmpx_o_u32 \dst, \src0, \src1 
.endm

.macro _v_cmpx_o_u64 dst, src0, src1=
   v_cmpx_o_u64 \dst, \src0, \src1 
.endm

.macro _v_cmpx_u_i16 dst, src0, src1=
   v_cmpx_u_i16 \dst, \src0, \src1 
.endm

.macro _v_cmpx_u_i32 dst, src0, src1=
   v_cmpx_u_i32 \dst, \src0, \src1 
.endm

.macro _v_cmpx_u_i64 dst, src0, src1=
   v_cmpx_u_i64 \dst, \src0, \src1 
.endm

.macro _v_cmpx_u_u16 dst, src0, src1=
   v_cmpx_u_u16 \dst, \src0, \src1 
.endm

.macro _v_cmpx_u_u32 dst, src0, src1=
   v_cmpx_u_u32 \dst, \src0, \src1 
.endm

.macro _v_cmpx_u_u64 dst, src0, src1=
   v_cmpx_u_u64 \dst, \src0, \src1 
.endm
.macro _v_mac_f32 c:req, a:req, b:req
    v_fmac_f32 \c, \a, \b
.endmacro

/* scale global load macros */
.macro _s_load_b32 dst base offset
    s_load_dword \dst \base \offset
.endm

.macro _s_load_b64 dst base offset
    s_load_dwordx2 \dst \base \offset
.endm

.macro _s_load_b128 dst base offset
    s_load_dwordx4 \dst \base \offset
.endm

.macro _s_load_b256 dst base offset
    s_load_dwordx8 \dst \base \offset
.endm

.macro _s_load_b512 dst base offset
    s_load_dwordx16 \dst \base \offset
.endm


/* ds operation macros */
.macro _ds_load_u8 dst src offset
    ds_read_u8 \dst \src \offset
.endm

.macro _ds_load_u8_d16_hi dst src offset
    ds_read_u8_d16_hi \dst \src \offset
.endm

.macro _ds_load_u16 dst src offset
    ds_read_u16 \dst \src \offset
.endm

.macro _ds_load_u16_d16_hi dst src offset
    ds_read_u16_d16_hi \dst \src \offset
.endm

.macro _ds_load_b32 dst src offset
    ds_read_b32 \dst \src \offset
.endm

.macro _ds_load_b64 dst src offset
    ds_read_b64 \dst \src \offset
.endm

.macro _ds_load_b128 dst src offset
    ds_read_b128 \dst \src \offset
.endm

.macro _ds_store_b8 dst src offset
    ds_write_b8 \dst \src \offset
.endm

.macro _ds_store_b8_d16_hi dst src offset
    ds_write_b8_d16_hi \dst \src \offset
.endm

.macro _ds_store_b16 dst src offset
    ds_write_b16 \dst \src \offset
.endm

.macro _ds_store_b16_d16_hi dst src offset
    ds_write_b16_d16_hi \dst \src \offset
.endm

.macro _ds_store_b32 dst src offset
    ds_write_b32 \dst \src \offset
.endm

.macro _ds_store_b64 dst src offset
    ds_write_b64 \dst \src \offset
.endm

.macro _ds_store_b128 dst src offset
    ds_write_b128 \dst \src \offset
.endm

.macro _ds_load2_b32 dst src offset1 offset2
    ds_read2_b32 \dst \src \offset1 \offset2
.endm

.macro _ds_load2_b64 dst src offset1 offset2
    ds_read2_b64 \dst \src \offset1 \offset2
.endm

.macro _ds_store2_b32 dst src offset1 offset2
    ds_write2_b32 \dst \src \offset1 \offset2
.endm

.macro _ds_store2_b64 dst src offset1 offset2
    ds_write2_b64 \dst \src \offset1 \offset2
.endm


/* buffer memory operation macros */
.macro _buffer_load_b32 dst voffset base soffset offen ioffset md0 md1 md2
    buffer_load_dword \dst \voffset \base \soffset \offen \ioffset \md0 \md1 \md2
.endm

.macro _buffer_load_b64 dst voffset base soffset offen ioffset md0 md1 md2
    buffer_load_dwordx2 \dst \voffset \base \soffset \offen \ioffset \md0 \md1 \md2
.endm

.macro _buffer_load_b96 dst voffset base soffset offen ioffset md0 md1 md2
    buffer_load_dwordx3 \dst \voffset \base \soffset \offen \ioffset \md0 \md1 \md2
.endm

.macro _buffer_load_b128 dst voffset base soffset offen ioffset md0 md1 md2
    buffer_load_dwordx4 \dst \voffset \base \soffset \offen \ioffset \md0 \md1 \md2
.endm

.macro _buffer_load_d16_b16 dst voffset base soffset offen ioffset md0 md1 md2
    buffer_load_short_d16 \dst \voffset \base \soffset \offen \ioffset \md0 \md1 \md2
.endm

.macro _buffer_load_d16_hi_b16 dst voffset base soffset offen ioffset md0 md1 md2
    buffer_load_short_d16_hi \dst \voffset \base \soffset \offen \ioffset \md0 \md1 \md2
.endm

.macro _buffer_load_d16_u8 dst voffset base soffset offen ioffset md0 md1 md2
    buffer_load_ubyte_d16 \dst \voffset \base \soffset \offen \ioffset \md0 \md1 \md2
.endm

.macro _buffer_load_d16_hi_u8 dst voffset base soffset offen ioffset md0 md1 md2
    buffer_load_ubyte_d16_hi \dst \voffset \base \soffset \offen \ioffset \md0 \md1 \md2
.endm

.macro _buffer_load_u16 dst voffset base soffset offen ioffset md0 md1 md2
    buffer_load_ushort \dst \voffset \base \soffset \offen \ioffset \md0 \md1 \md2
.endm

.macro _buffer_load_b32_dtl voffset base soffset offen ioffset md0 md1 md2
    buffer_load_dword \voffset \base \soffset \offen \ioffset \md0 \md1 \md2
.endm

.macro _buffer_load_b64_dtl voffset base soffset offen ioffset md0 md1 md2
    buffer_load_dwordx2 \voffset \base \soffset \offen \ioffset \md0 \md1 \md2
.endm

.macro _buffer_load_b128_dtl voffset base soffset offen ioffset md0 md1 md2
    buffer_load_dwordx4 \voffset \base \soffset \offen \ioffset \md0 \md1 \md2
.endm

.macro _buffer_load_u16_dtl voffset base soffset offen ioffset md0 md1 md2
    buffer_load_ushort \voffset \base \soffset \offen \ioffset \md0 \md1 \md2
.endm

.macro _buffer_store_b32 src voffset base soffset offen ioffset md0 md1 md2
    buffer_store_dword \src \voffset \base \soffset \offen \ioffset \md0 \md1 \md2
.endm

.macro _buffer_store_b64 src voffset base soffset offen ioffset md0 md1 md2
    buffer_store_dwordx2 \src \voffset \base \soffset \offen \ioffset \md0 \md1 \md2
.endm

.macro _buffer_store_b96 src voffset base soffset offen ioffset md0 md1 md2
    buffer_store_dwordx3 \src \voffset \base \soffset \offen \ioffset \md0 \md1 \md2
.endm

.macro _buffer_store_b128 src voffset base soffset offen ioffset md0 md1 md2
    buffer_store_dwordx4 \src \voffset \base \soffset \offen \ioffset \md0 \md1 \md2
.endm

.macro _buffer_store_b16 src voffset base soffset offen ioffset md0 md1 md2
    buffer_store_short \src \voffset \base \soffset \offen \ioffset \md0 \md1 \md2
.endm

.macro _buffer_store_d16_hi_b16 src voffset base soffset offen ioffset md0 md1 md2
    buffer_store_short_d16_hi \src \voffset \base \soffset \offen \ioffset \md0 \md1 \md2
.endm

.macro _buffer_store_b8 src voffset base soffset offen ioffset md0 md1 md2
    buffer_store_byte \src \voffset \base \soffset \offen \ioffset \md0 \md1 \md2
.endm

.macro _buffer_store_d16_hi_b8 src voffset base soffset offen ioffset md0 md1 md2
    buffer_store_byte_d16_hi \src \voffset \base \soffset \offen \ioffset \md0 \md1 \md2
.endm

.macro _buffer_atomic_cmpswap_b32 dst voffset base soffset offen ioffset md0 md1 md2
    buffer_atomic_cmpswap \dst \voffset \base \soffset \offen \ioffset \md0 \md1 \md2
.endm

.macro _buffer_atomic_cmpswap_b64 dst voffset base soffset offen ioffset md0 md1 md2
    buffer_atomic_cmpswap_x2 \dst \voffset \base \soffset \offen \ioffset \md0 \md1 \md2
.endm


/* buffer memory operation macros */
.macro _global_load_b32 dst base src ioffset md0 md1 md2
    global_load_dword \dst \base \src \ioffset \md0 \md1 \md2
.endm

.macro _global_load_b64 dst base src ioffset md0 md1 md2
    global_load_dwordx2 \dst \base \src \ioffset \md0 \md1 \md2
.endm

.macro _global_load_b96 dst base src ioffset md0 md1 md2
    global_load_dwordx3 \dst \base \src \ioffset \md0 \md1 \md2
.endm

.macro _global_load_b128 dst base src ioffset md0 md1 md2
    global_load_dwordx4 \dst \base \src \ioffset \md0 \md1 \md2
.endm

.macro _global_load_d16_b16 dst base src ioffset md0 md1 md2
    global_load_short_d16 \dst \base \src \ioffset \md0 \md1 \md2
.endm

.macro _global_load_d16_hi_b16 dst base src ioffset md0 md1 md2
    global_load_short_d16_hi \dst \base \src \ioffset \md0 \md1 \md2
.endm

.macro _global_load_d16_u8 dst base src ioffset md0 md1 md2
    global_load_ubyte_d16 \dst \base \src \ioffset \md0 \md1 \md2
.endm

.macro _global_load_d16_hi_u8 dst base src ioffset md0 md1 md2
    global_load_ubyte_d16_hi \dst \base \src \ioffset \md0 \md1 \md2
.endm

.macro _global_load_u16 dst base src ioffset md0 md1 md2
    global_load_ushort \dst \base \src \ioffset \md0 \md1 \md2
.endm

.macro _global_store_b32 base src src2 md0 md1 md2
    global_store_dword \base \src \src2 \md0 \md1 \md2
.endm

.macro _global_store_b64 base src src2 md0 md1 md2
    global_store_dwordx2 \base \src \src2 \md0 \md1 \md2
.endm

.macro _global_store_b96 base src src2 md0 md1 md2
    global_store_dwordx3 \base \src \src2 \md0 \md1 \md2
.endm

.macro _global_store_b128 base src src2 md0 md1 md2
    global_store_dwordx4 \base \src \src2 \md0 \md1 \md2
.endm

.macro _global_store_d16_b16 base src src2 md0 md1 md2
    global_store_short \base \src \src2 \md0 \md1 \md2
.endm

.macro _global_store_d16_hi_b16 base src src2 md0 md1 md2
    global_store_short_d16_hi \base \src \src2 \md0 \md1 \md2
.endm

.macro _global_store_d16_u8 base src src2 md0 md1 md2
    global_store_ubyte_d16 \base \src \src2 \md0 \md1 \md2
.endm

.macro _global_store_d16_hi_u8 base src src2 md0 md1 md2
    global_store_ubyte_d16_hi \base \src \src2 \md0 \md1 \md2
.endm

.macro _global_store_u16 base src src2 md0 md1 md2
    global_store_ushort \base \src \src2 \md0 \md1 \md2
.endm

.macro _global_atomic_cmpswap_b32 tmp base data src ioffset md
    global_atomic_cmpswap \tmp \base \data \src \ioffset \md
.endm

.macro _global_atomic_cmpswap_b64 tmp base data src ioffset md
    global_atomic_cmpswap_x2 \tmp \base \data \src \ioffset \md
.endm


/******************************************/
/* Magic div and mod functions            */
/******************************************/
.macro V_MAGIC_DIV dstIdx:req, dividend:req, magicNumber:req, magicShift:req, magicA:req
    v_mul_hi_u32 v[\dstIdx+1], \dividend, \magicNumber
    v_mul_lo_u32 v[\dstIdx+0], \dividend, \magicA
    _v_add_u32 v[\dstIdx+0], v[\dstIdx+0], v[\dstIdx+1]
    v_lshrrev_b32 v[\dstIdx+0], \magicShift, v[\dstIdx+0]
.endm

/******************************************/
/* VGPR Assignments                       */
/******************************************/
/* ValuC range: [0-0), serializedStore enabled */
.set vgprValuC, 0
/* ValuA/B   Xn=PLR buffer idx,  In=InnerUnroll idx */
.set vgprValuA_X0_I0, 0
.set vgprValuA_X1_I0, 8
.set vgprValuA_X2_I0, 16
.set vgprValuA_X3_I0, 24
.set vgprG2LA, 68
.set vgprValuB_X0_I0, 32
.set vgprValuB_X1_I0, 40
.set vgprValuB_X2_I0, 48
.set vgprValuB_X3_I0, 56
.set vgprG2LB, 84
.set vgprLocalWriteAddrA, 64
.set vgprLocalWriteAddrB, 65
.set vgprGlobalReadOffsetA, 66
.set vgprGlobalReadOffsetB, 67
.set vgprLocalReadAddrA, 100
.set vgprLocalReadAddrB, 101
.set vgprSerial, 102
/* Num VGPR=256 */
/* Num AccVGPR=256 */

/******************************************/
/* SGPR Assignments                       */
/******************************************/
.set sgprKernArgAddress, 0 // (2)
.set sgprWorkGroup0, 2 // (1)
.set sgprWorkGroup1, 3 // (1)
.set sgprWorkGroup2, 4 // (1)
.set sgprLoopCounterL, 5 // (1)
.set sgprOrigLoopCounter, 6 // (1)
.set sgprSrdA, 8 // (4)
.set sgprSrdB, 12 // (4)
.set sgprSrdD, 16 // (4)
.set sgprSrdC, 20 // (4)
.set sgprTensor2dSizeA, 24 // (2)
.set sgprTensor2dSizeB, 26 // (2)
.set sgprAddressD, 28 // (2)
.set sgprAddressC, 30 // (2)
.set sgprAddressA, 32 // (2)
.set sgprAddressB, 34 // (2)
.set sgprAlpha, 36 // (1)
.set sgprBeta, 37 // (1)
.set sgprStridesD, 38 // (2)
.set sgprStridesC, 40 // (2)
.set sgprStridesA, 42 // (2)
.set sgprStridesB, 44 // (2)
.set sgprSizesFree, 46 // (3)
.set sgprSizesSum, 49 // (1)
.set sgprOrigStaggerUIter, 50 // (1)
.set sgprNumWorkGroups0, 51 // (1)
.set sgprNumWorkGroups1, 52 // (1)
.set sgprNumFullBlocks, 53 // (1)
.set sgprWgmRemainder1, 54 // (1)
.set sgprMagicNumberWgmRemainder1, 55 // (1)
.set sgprShadowLimitA, 0 // (2)
.set sgprShadowLimitB, 28 // (2)
.set sgprStaggerUIter, 7 // (1)
.set sgprWrapUA, 30 // (2)
.set sgprWrapUB, 32 // (2)
.set sgprGlobalReadIncsA, 34 // (1)
.set sgprGlobalReadIncsB, 35 // (1)
.set sgprScalarGlobalReadOffsetA, 58 // (3)
.set sgprScalarGlobalReadOffsetB, 61 // (3)
/* max SGPR=69 */

/* Size Assignments */
.set sgprSizeI, sgprSizesFree+0
.set sgprSizeJ, sgprSizesFree+1
.set sgprSizeK, sgprSizesFree+2
.set sgprSizeL, sgprSizesSum+0

/* Stride Assignments */
.set constStrideD0I, 1
.set sgprStrideD1J, sgprStridesD+0
.set sgprStrideDK, sgprStridesD+1
.set constStrideC0I, 1
.set sgprStrideC1J, sgprStridesC+0
.set sgprStrideCK, sgprStridesC+1
.set constStrideAL, 1
.set sgprStrideA0I, sgprStridesA+0
.set sgprStrideAK, sgprStridesA+1
.set constStrideBL, 1
.set sgprStrideB1J, sgprStridesB+0
.set sgprStrideBK, sgprStridesB+1

.set MT0, 256
.set MT1, 256
.set DepthU, 32
.set GSU, 1
.set BpeA, 2
.set BpeALog2, 1
.set BpeB, 2
.set BpeBLog2, 1
/* Number of elements to shift-left SRD */
.set SrdShiftLeftA, 8
.set SrdShiftLeftB, 8
/* 2GB limit - set offsets to -1 to exceed this and clamp */
.set BufferLimitA, 0xffffffff
.set BufferLimitB, 0xffffffff
.set BufferOOB, 0xfffff000

/******************************************/
/* Bits 127:96 of SRD.                    */
/* hex: 0x00020000                        */
/* dst_sel_x (3b): 0                      */
/* dst_sel_y (3b): 0                      */
/* dst_sel_z (3b): 0                      */
/* dst_sel_w (3b): 0                      */
/* num_format (3b): 0                     */
/* data_format (4b): 4                    */
/* user_vm_enable (1b): 0                 */
/* user_vm_mode (1b): 0                   */
/* index_stride (2b): 0                   */
/* add_tid_enable (1b): 0                 */
/* _unusedA (3b): 0                       */
/* nv (1b): 0                             */
/* _unusedB (2b): 0                       */
/* type (2b): 0                           */
/******************************************/
.set Srd127_96, 0x00020000

/* Global Offset A */
.macro GLOBAL_OFFSET_A vgprAddr:req vgprOffsetL:req vgprOffset0I:req vgprTmp:req
v_mul_lo_u32 v[\vgprTmp+0], s[sgprStrideA0I], v[\vgprOffset0I] // mul d1 lower
_v_add_co_u32 v[\vgprAddr+0], vcc, v[\vgprOffsetL], v[\vgprTmp+0] // accumulate K lower
_v_add_u32 v[\vgprAddr+0], 0x8, v[\vgprAddr+0]     // add prepad for pointer shift
v_lshlrev_b32 v[\vgprAddr+0], 0x1, v[\vgprAddr+0]  // offset *= bytes/element
.endm

/* Global Offset B */
.macro GLOBAL_OFFSET_B vgprAddr:req vgprOffsetL:req vgprOffset1J:req vgprTmp:req
v_mul_lo_u32 v[\vgprTmp+0], s[sgprStrideB1J], v[\vgprOffset1J] // mul d1 lower
_v_add_co_u32 v[\vgprAddr+0], vcc, v[\vgprOffsetL], v[\vgprTmp+0] // accumulate K lower
_v_add_u32 v[\vgprAddr+0], 0x8, v[\vgprAddr+0]     // add prepad for pointer shift
v_lshlrev_b32 v[\vgprAddr+0], 0x1, v[\vgprAddr+0]  // offset *= bytes/element
.endm

/******************************************/
/* Dynamic Scalar Divide: vQuotient=vDividend/vDivisor; vRemainder=vDividend%vDivisor; */
/******************************************/
.macro DYNAMIC_VECTOR_DIVIDE vQuotient vRemainder vDividend vDivisor vTmp0 vTmp1 sTmp
v_cvt_f32_u32 v[\vQuotient], v[\vDivisor]          // 
v_rcp_f32 v[\vQuotient], v[\vQuotient]             // 
v_mul_f32 v[\vQuotient], 0x4f800000, v[\vQuotient] // 
v_cvt_u32_f32 v[\vQuotient], v[\vQuotient]         // 
v_mul_lo_u32 v[\vRemainder], v[\vDivisor], v[\vQuotient] // 
v_mul_hi_u32 v[\vTmp0], v[\vDivisor], v[\vQuotient] // 
_v_sub_co_u32 v[\vTmp1], vcc, 0x0, v[\vRemainder]  // 
v_cmp_ne_i32 s[\sTmp:\sTmp+1], 0x0, v[\vTmp0]      // 
v_cndmask_b32 v[\vRemainder], v[\vTmp1], v[\vRemainder], s[\sTmp:\sTmp+1] // 
v_mul_hi_u32 v[\vRemainder], v[\vRemainder], v[\vQuotient] // 
_v_sub_co_u32 v[\vTmp0], vcc, v[\vQuotient], v[\vRemainder] // 
_v_add_co_u32 v[\vQuotient], vcc, v[\vQuotient], v[\vRemainder] // 
v_cndmask_b32 v[\vQuotient], v[\vQuotient], v[\vTmp0], s[\sTmp:\sTmp+1] // 
v_mul_hi_u32 v[\vQuotient], v[\vQuotient], v[\vDividend] // 
v_mul_lo_u32 v[\vRemainder], v[\vQuotient], v[\vDivisor] // 
_v_sub_co_u32 v[\vTmp0], vcc, v[\vDividend], v[\vRemainder] // 
v_cmp_ge_u32 s[\sTmp:\sTmp+1], v[\vDividend], v[\vRemainder] // 
_v_add_co_u32 v[\vRemainder], vcc, 0x1, v[\vQuotient] // 
_v_add_co_u32 v[\vTmp1], vcc, -1, v[\vQuotient]    // 
v_cmp_le_u32 vcc, v[\vDivisor], v[\vTmp0]          // 
s_and_b64 vcc, s[\sTmp:\sTmp+1], vcc               // 
v_cndmask_b32 v[\vQuotient], v[\vQuotient], v[\vRemainder], vcc // 
v_cndmask_b32 v[\vQuotient], v[\vTmp1], v[\vQuotient], s[\sTmp:\sTmp+1] // 
v_cmp_ne_i32 vcc, 0x0, v[\vDivisor]                // 
v_cndmask_b32 v[\vQuotient], -1, v[\vQuotient], vcc // final result
v_mul_lo_u32 v[\vRemainder], v[\vQuotient], v[\vDivisor] // 
_v_sub_co_u32 v[\vRemainder], vcc, v[\vDividend], v[\vRemainder] // final result
.endm



/******************************************/
/* Allocate Resources                     */
/******************************************/

Cijk_Alik_Bljk_BBS_BH_MT256x256x32_MI32x32x8x1_SN_1LDSB1_APM1_AF0EM8_AF1EM8_AMAS3_ASE_ASGT3128_ASLT_ASM_ASAE01_ASCE01_ASEM1_BL1_BS1_CLR0_DTVA0_DTVB0_ETSP_EPS1_ELFLR4_EMLL0_FSSC10_FL0_GLVWA8_GLVWB8_GRCGA1_GRPM1_GRVW8_GSU1_GSUASB_GLS1_IU1_K1_LBSPPA128_LBSPPB128_LPA8_LPB8_LRVW8_LWPMn1_MIAV0_MKFGSU256_NTA0_NTB0_NTC0_NTD0_NEPBS16_NLCA1_NLCB1_ONLL1_PGR2_PLR5_PKA0_SIA3_SLW1_SS1_SU8_SUM0_SUS128_SPO0_SRVW0_SSO4_SVW2_TSGRA0_TSGRB0_TT4_128_TLDS1_UMLDSA1_UMLDSB1_USFGROn1_VAW1_VSn1_VW2_VWB1_VFLRP0_WSGRA1_WSGRB0_WG64_4_1_WGM30_preloaded: // Kernel start when preloading

/* Load Kernel Args */
_s_load_b512 s[24:39], s[sgprKernArgAddress:sgprKernArgAddress+1], 0x0 // 
_s_load_b512 s[40:55], s[sgprKernArgAddress:sgprKernArgAddress+1], 0x40 // 
s_mov_b32 m0, 0x9000                               // LDS clamp at 36864 bytes
v_mov_b32 v[vgprSerial], v0                        // thread serial id

/******************************************/
/* Local Read Addresses                   */
/******************************************/


/* local read addresses: tile assignments a/b */

/*lr0I*/
v_and_b32 v1, 63, v[vgprSerial]                    // 0. thread id in wave: wtid = tid % wavelength(64)
v_and_b32 v0, 31, v1                               // 1. N offset: nIdx = wtid % MI_N(32)
v_lshlrev_b32 v0, 0x5, v0                          // 1. N offset: nOffset = nIdx * nStride(32)
                                                   // 2. block offset: bnIdx = bnIdx % num1DBlocks(1) is 0. do nothing
v_lshlrev_b32 v0, 0x1, v0                          // 4. apply VectorWidth: bnOffset = bnOffset * vw(2)
v_lshrrev_b32 v1, 5, v1                            // 5. K offset: kIdx = wtid / (MIN(32) * MIBB(1))
v_lshlrev_b32 v1, 0x3, v1                          // 5. K offset: lrKOffset = kIdx * mStride(8)
_v_add_u32 v0, v1, v0                              // 6. offset in wave: lrOffset = bnOffset + lrKOffset
v_lshrrev_b32 v2, 6, v[vgprSerial]                 // 7. wave offset in N dimen: wtid = tid / dividedForWaveId(64)
v_and_b32 v1, 1, v2                                // 7. wave offset in M dimen: wtid0 = wtid / num1DWaves(2)
v_lshlrev_b32 v1, 0xb, v1                          // 7. wave offset in M dimen: wOffset = wtid0 * W0Stride(2048)
_v_add_u32 v0, v1, v0                              // 8. final local read offset: flrOffset = lrOffset + WOffset
/*lr1J*/
v_and_b32 v2, 63, v[vgprSerial]                    // 0. thread id in wave: wtid = tid % wavelength(64)
v_and_b32 v1, 31, v2                               // 1. N offset: nIdx = wtid % MI_N(32)
v_lshlrev_b32 v1, 0x5, v1                          // 1. N offset: nOffset = nIdx * nStride(32)
                                                   // 2. block offset: bnIdx = bnIdx % num1DBlocks(1) is 0. do nothing
                                                   // 4. apply VectorWidth: bnOffset = bnOffset * vw(1) (multiplier is 1, do nothing)
v_lshrrev_b32 v2, 5, v2                            // 5. K offset: kIdx = wtid / (MIN(32) * MIBB(1))
v_lshlrev_b32 v2, 0x3, v2                          // 5. K offset: lrKOffset = kIdx * mStride(8)
_v_add_u32 v1, v2, v1                              // 6. offset in wave: lrOffset = bnOffset + lrKOffset
v_lshrrev_b32 v3, 7, v[vgprSerial]                 // 7. wave offset in N dimen: wtid = tid / dividedForWaveId(128)
v_and_b32 v2, 1, v3                                // 7. wave offset in M dimen: wtid0 = wtid / num1DWaves(2)
v_lshlrev_b32 v2, 0xa, v2                          // 7. wave offset in M dimen: wOffset = wtid0 * W0Stride(1024)
_v_add_u32 v1, v2, v1                              // 8. final local read offset: flrOffset = lrOffset + WOffset


/* local read addresses: final offsets a */

v_lshlrev_b32 v[vgprLocalReadAddrA], 0x1, v0       // Final Offset: offset = (lro0)*bpe
v_lshrrev_b32 v0, 7, v[vgprLocalReadAddrA]         // Final Offset: padding 8 per block 128
v_lshlrev_b32 v0, 0x4, v0                          // Final Offset: padding 8 per block 128
_v_add_u32 v[vgprLocalReadAddrA], v0, v[vgprLocalReadAddrA] // Final Offset: add padding 8 per block 128


/* local read addresses: final offsets b */

v_lshlrev_b32 v[vgprLocalReadAddrB], 0x1, v1       // Final Offset: offset = (lro1)*bpe
v_lshrrev_b32 v0, 7, v[vgprLocalReadAddrB]         // Final Offset: padding 8 per block 128
v_lshlrev_b32 v0, 0x4, v0                          // Final Offset: padding 8 per block 128
_v_add_u32 v[vgprLocalReadAddrB], v0, v[vgprLocalReadAddrB] // Final Offset: add padding 8 per block 128


/* local read addresses: declare addresses a */

/* N/A */


/* local read addresses: declare addresses b */

_v_add_co_u32 v[vgprLocalReadAddrB+0], vcc, 0x4800, v[vgprLocalReadAddrB+0] //  += LdsOffsetB (lower)


/* global read addresses: tile offset assignment a */

/* LVCA = 4 */
/* v0 = (local)groA-tile = serial/LVCA (note (wgA*MTA) will be added to SRD) */
/* v1 = groA-unroll = serial%LVCA */
v_and_b32 v2, 63, v[vgprSerial]                    // v2 = v[vgprSerial] % 64
v_lshrrev_b32 v0, 2, v2                            // v0 = v2 / 4
v_and_b32 v1, 3, v2                                // v1 = v2 % 4
v_readfirstlane_b32 s56, v[vgprSerial]             // WaveIdxWavefrontWidth
s_lshr_b32 s56, s56, 0x6                           // WaveId
s_mul_i32 s56, s56, 64                             // Global Read Wave: each wave loads continuous lsp(16)*nrp(4) columns
_v_add_u32 v0, s56, v0                             // Global Read Wave: add back to column index
/* gro-unroll *= glvw */
v_lshlrev_b32 v1, 0x3, v1                          // v1 = v1 * 8


/* global read addresses: tile offset assignment b */

/* LVCB = 4 */
/* v2 = (local)groB-tile = serial/LVCB (note (wgB*MTB) will be added to SRD) */
/* v3 = groB-unroll = serial%LVCB */
v_lshrrev_b32 v2, 2, v[vgprSerial]                 // v2 = v[vgprSerial] / 4
v_and_b32 v3, 3, v[vgprSerial]                     // v3 = v[vgprSerial] % 4
/* gro-unroll *= glvw */
v_lshlrev_b32 v3, 0x3, v3                          // v3 = v3 * 8


/******************************************/
/* Local Write Addresses                  */
/******************************************/

/* lwaTileAssignmentA = v0 */

/* lwaTileAssignmentB = v2 */

/* lwaUnrollAssignmentA = v1 */

/* lwaUnrollAssignmentB = v3 */


/* local write addresses: first offset a */

v_mul_u32_u24 v[vgprLocalWriteAddrA], 0x20, v0     // lwAL**(DepthU_Compute + PAD)
_v_add_lshl_u32 v[vgprLocalWriteAddrA], v1, v[vgprLocalWriteAddrA], 0x1 // lwFOA = (lwAA + lwAL*(DepthU+PAD))*bpe
v_lshrrev_b32 v4, 7, v[vgprLocalWriteAddrA]        // padding 8 per block 128
v_lshlrev_b32 v4, 0x4, v4                          // padding 8 per block 128
_v_add_u32 v[vgprLocalWriteAddrA], v4, v[vgprLocalWriteAddrA] // add padding 8 per block 128


/* local write addresses: first offset b */

v_mul_u32_u24 v[vgprLocalWriteAddrB], 0x20, v2     // lwBL**(DepthU_Compute + PAD)
_v_add_lshl_u32 v[vgprLocalWriteAddrB], v3, v[vgprLocalWriteAddrB], 0x1 // lwFOB = (lwBB + lwBL*(DepthU+PAD))*bpe
v_lshrrev_b32 v4, 7, v[vgprLocalWriteAddrB]        // padding 8 per block 128
v_lshlrev_b32 v4, 0x4, v4                          // padding 8 per block 128
_v_add_u32 v[vgprLocalWriteAddrB], v4, v[vgprLocalWriteAddrB] // add padding 8 per block 128
_v_add_co_u32 v[vgprLocalWriteAddrB], vcc, 0x4800, v[vgprLocalWriteAddrB] // lwFOB = lwB1J + lwBL*MT1J + LDS_OFFSET_B=9216*2







s_waitcnt lgkmcnt(0)                               // wait for 128 bytes of kern args
s_mov_b64 s[sgprSrdC+0:sgprSrdC+0+1], s[sgprAddressC+0:sgprAddressC+0+1] // copy addressC
s_mov_b64 s[sgprSrdD+0:sgprSrdD+0+1], s[sgprAddressD+0:sgprAddressD+0+1] // copy addressD
s_sub_u32 s[sgprSrdA+0], s[sgprAddressA+0], 16     // pre-pad to make room for possible pointer shift
s_subb_u32 s[sgprSrdA+1], s[sgprAddressA+1], 0     // pre-pad to make room for possible pointer shift
s_sub_u32 s[sgprSrdB+0], s[sgprAddressB+0], 16     // pre-pad to make room for possible pointer shift
s_subb_u32 s[sgprSrdB+1], s[sgprAddressB+1], 0     // pre-pad to make room for possible pointer shift

.set AddressD, UNDEF
.set AddressC, UNDEF
.set AddressA, UNDEF
.set AddressB, UNDEF

/* Short circuit condition if Alpha == 0, then sumDims=0 */
v_cmp_eq_f32 vcc, s[sgprAlpha], 0.0                // Alpha == 0.0f ?
s_cbranch_vccz label_AlphaNonZero                  // branch if alpha != 0
s_mov_b32 s[sgprSizesSum+0], 0x0                   // Set summation dim=0 if Alpha == 0
label_AlphaNonZero:


	;; [unrolled: 1-line block ×3, first 2 shown]
/******************************************/
/* Begin setupNewTile, isPap=False           */
/******************************************/


/* global read addresses: work-group */

/* graWorkGroup mapping */
s_mov_b32 s67, 0x4444445L                          // magic number for WGM==30
s_mul_hi_u32 s65, s[sgprWorkGroup1], s67           // s_magic mul
s_mul_i32 s64, s[sgprWorkGroup1], s67              // s_magic mul
s_lshr_b64 s[64:65], s[64:65], 31                  // sMagicDiv
s_mul_i32 s65, s64, 30                             // quotient * non-magic divisor
s_sub_u32 s65, s[sgprWorkGroup1], s65              // WorkGroup1=remainder
s_mul_i32 s65, s65, s[sgprNumWorkGroups0]          // (wg1 % WGM)*nwg0
s_add_u32 s65, s65, s[sgprWorkGroup0]              // wgSerial = wg0 + (wg1 % WGM)*nwg1
s_cmp_ge_u32 s64, s[sgprNumFullBlocks]             // blockId >= numFullBlocks ?
s_cmov_b32 s67, s[sgprMagicNumberWgmRemainder1]    // 
s_cselect_b32 s66, s[sgprWgmRemainder1], 30        // 
s_mul_hi_u32 s3, s65, s67                          // s_magic mul
s_mul_i32 s2, s65, s67                             // s_magic mul
s_lshr_b64 s[2:3], s[2:3], 31                      // sMagicDiv
s_mul_i32 s[sgprWorkGroup1], s[sgprWorkGroup0], s66 // quotient * non-magic divisor
s_sub_u32 s[sgprWorkGroup1], s65, s[sgprWorkGroup1] // WorkGroup1=remainder
s_mul_i32 s64, s64, 30                             // blockId * WGM
s_add_u32 s[sgprWorkGroup1], s[sgprWorkGroup1], s64 // wg1 += blockId * WGM


/* global read addresses: unroll assignment a */

/* v1 */


/* global read addresses: unroll assignment b */

/* v3 */


/* global read addresses: other free assignments */

/* s[sgprWorkGroup2] */


/* global read addresses: tile offsets a */


	;; [unrolled: 1-line block ×3, first 2 shown]
/* global read addresses: tile offsets b */


	;; [unrolled: 1-line block ×3, first 2 shown]
/* global read addresses: unroll offsets a */


	;; [unrolled: 1-line block ×3, first 2 shown]
/* global read addresses: unroll offsets b */



/* global read addresses: final offsets a */

GLOBAL_OFFSET_A vgprGlobalReadOffsetA+0,  1,  0, 4 // gROA_0_0_0_0
s_mul_i32 s[sgprScalarGlobalReadOffsetA+0], s[sgprStrideA0I], 16 // compute offset diff (scaled tileDim)
s_lshl_b32 s[sgprScalarGlobalReadOffsetA+0], s[sgprScalarGlobalReadOffsetA+0], 0x1 // scalar offset *= bytes/element
s_mul_i32 s[sgprScalarGlobalReadOffsetA+1], s[sgprStrideA0I], 32 // compute offset diff (scaled tileDim)
s_lshl_b32 s[sgprScalarGlobalReadOffsetA+1], s[sgprScalarGlobalReadOffsetA+1], 0x1 // scalar offset *= bytes/element
	;; [unrolled: 2-line block ×3, first 2 shown]


/* global read addresses: final offsets b */

GLOBAL_OFFSET_B vgprGlobalReadOffsetB+0,  3,  2, 4 // gROB_0_0_0_0
s_mul_i32 s[sgprScalarGlobalReadOffsetB+0], s[sgprStrideB1J], 64 // compute offset diff (scaled tileDim)
s_lshl_b32 s[sgprScalarGlobalReadOffsetB+0], s[sgprScalarGlobalReadOffsetB+0], 0x1 // scalar offset *= bytes/element
s_mul_i32 s[sgprScalarGlobalReadOffsetB+1], s[sgprStrideB1J], 128 // compute offset diff (scaled tileDim)
s_lshl_b32 s[sgprScalarGlobalReadOffsetB+1], s[sgprScalarGlobalReadOffsetB+1], 0x1 // scalar offset *= bytes/element
	;; [unrolled: 2-line block ×3, first 2 shown]


/* global read addresses: addresses a */

/* max read offset = size[n] * stride[n-1] */
s_mul_hi_u32 s67, s[sgprWorkGroup0], 256           // WorkGroup[01] * MT
s_mul_i32 s66, s[sgprWorkGroup0], 256              // WorkGroup[01] * MT
s_mul_hi_u32 s67, s66, s[sgprStrideA0I]            // tlu=0, scaled tile-offset by stride
s_mul_i32 s66, s66, s[sgprStrideA0I]               // tlu=0, scaled tile-offset by stride
s_sub_u32 s[sgprShadowLimitA+0], s[sgprTensor2dSizeA], s66 // sub tileStart
s_subb_u32 s[sgprShadowLimitA+1], s[sgprTensor2dSizeA+1], s67 // sub tileStart
s_lshl_b64 s[sgprShadowLimitA:sgprShadowLimitA+1], s[sgprShadowLimitA:sgprShadowLimitA+1], 0x1 // Set limit to use bytes
s_add_u32 s[sgprShadowLimitA+0], s[sgprShadowLimitA+0], 16 // extend limit for pre-pad
s_addc_u32 s[sgprShadowLimitA+1], s[sgprShadowLimitA+1], 0 // extend limit for pre-pad
s_cmp_eq_u32 s[sgprShadowLimitA+1], 0              // are we within 2^32?
s_cselect_b32 s[sgprSrdA+2], s[sgprShadowLimitA+0], BufferLimitA // Move shadow to real if we are within 2^32
s_mul_hi_u32 s65, s[sgprStrideAK], s[sgprWorkGroup2] // Stride*WG
s_mul_i32 s64, s[sgprStrideAK], s[sgprWorkGroup2]  // Stride*WG
s_add_u32 s66, s66, s64                            // accum wg term to tilestart
s_addc_u32 s67, s67, s65                           // accum wg term to tilestart
s_lshl_b64 s[66:67], s[66:67], 0x1                 // tileStart *= BPE
s_add_u32 s[sgprSrdA+0], s[sgprSrdA+0], s66        // SRD base = Address+ tileStart0
s_addc_u32 s[sgprSrdA+1], s[sgprSrdA+1], s67       // SRD base = Address+ tileStart1
s_mov_b32 s[sgprSrdA+3], Srd127_96                 // Set bits 127_96 in SRD


/* global read addresses: addresses b */

/* max read offset = size[n] * stride[n-1] */
s_mul_hi_u32 s67, s[sgprWorkGroup1], 256           // WorkGroup[01] * MT
s_mul_i32 s66, s[sgprWorkGroup1], 256              // WorkGroup[01] * MT
s_mul_hi_u32 s67, s66, s[sgprStrideB1J]            // tlu=0, scaled tile-offset by stride
s_mul_i32 s66, s66, s[sgprStrideB1J]               // tlu=0, scaled tile-offset by stride
s_sub_u32 s[sgprShadowLimitB+0], s[sgprTensor2dSizeB], s66 // sub tileStart
s_subb_u32 s[sgprShadowLimitB+1], s[sgprTensor2dSizeB+1], s67 // sub tileStart
s_lshl_b64 s[sgprShadowLimitB:sgprShadowLimitB+1], s[sgprShadowLimitB:sgprShadowLimitB+1], 0x1 // Set limit to use bytes
s_add_u32 s[sgprShadowLimitB+0], s[sgprShadowLimitB+0], 16 // extend limit for pre-pad
s_addc_u32 s[sgprShadowLimitB+1], s[sgprShadowLimitB+1], 0 // extend limit for pre-pad
s_cmp_eq_u32 s[sgprShadowLimitB+1], 0              // are we within 2^32?
s_cselect_b32 s[sgprSrdB+2], s[sgprShadowLimitB+0], BufferLimitB // Move shadow to real if we are within 2^32
s_mul_hi_u32 s65, s[sgprStrideBK], s[sgprWorkGroup2] // Stride*WG
s_mul_i32 s64, s[sgprStrideBK], s[sgprWorkGroup2]  // Stride*WG
s_add_u32 s66, s66, s64                            // accum wg term to tilestart
s_addc_u32 s67, s67, s65                           // accum wg term to tilestart
s_lshl_b64 s[66:67], s[66:67], 0x1                 // tileStart *= BPE
s_add_u32 s[sgprSrdB+0], s[sgprSrdB+0], s66        // SRD base = Address+ tileStart0
s_addc_u32 s[sgprSrdB+1], s[sgprSrdB+1], s67       // SRD base = Address+ tileStart1
s_mov_b32 s[sgprSrdB+3], Srd127_96                 // Set bits 127_96 in SRD


/* global read addresses: increments a */

s_mov_b32 s[sgprGlobalReadIncsA+0], DepthU*BpeA    // incrA (unrollIdx)


/* global read addresses: increments b */

s_mov_b32 s[sgprGlobalReadIncsB+0], DepthU*BpeB    // incrB (unrollIdx)

/* declare loop num iterations */


s_lshr_b32 s[sgprLoopCounterL], s[sgprSizesSum+0], 5 // s[sgprLoopCounterL] = s[sgprSizesSum+0] / 32
s_mov_b32 s[sgprOrigLoopCounter], s[sgprLoopCounterL] // copy loop counter

s_and_b32 s[sgprStaggerUIter], s[sgprOrigStaggerUIter], s[sgprWorkGroup0] // Compute actual stagger start for this tile
s_lshl_b32 s[sgprStaggerUIter], s[sgprStaggerUIter], 1 // shift by StaggerUStride


/* SRDs += (StaggerUIter) * GlobalReadIncsA+0 */
s_mul_hi_u32 s65, s[sgprStaggerUIter], s[sgprGlobalReadIncsA+0] //  stagger byte offset
s_mul_i32 s64, s[sgprStaggerUIter], s[sgprGlobalReadIncsA+0] //  stagger byte offset
s_mul_hi_u32 s[sgprWrapUA+1], s[sgprLoopCounterL], s[sgprGlobalReadIncsA+0] // Number of bytes accessed by the unroll loop
s_mul_i32 s[sgprWrapUA+0], s[sgprLoopCounterL], s[sgprGlobalReadIncsA+0] // Number of bytes accessed by the unroll loop
s_sub_u32 s[sgprWrapUA+0], s[sgprGlobalReadIncsA+0], s[sgprWrapUA+0] // remove one iteration
s_subb_u32 s[sgprWrapUA+1], 0, s[sgprWrapUA+1]     // remove one iteration
s_add_u32 s[sgprSrdA+0], s[sgprSrdA+0], s64        // gra SRD += inc(lower)
s_addc_u32  s[sgprSrdA+1], s[sgprSrdA+1], s65      // gra SRD += inc(upper)
s_sub_u32 s[sgprShadowLimitA+0], s[sgprShadowLimitA+0], s64 // limit -= inc)
s_subb_u32 s[sgprShadowLimitA+1], s[sgprShadowLimitA+1], s65 // limit -= inc)
s_cmp_eq_u32 s[sgprShadowLimitA+1], 0              // are we within 2^32?
s_cselect_b32 s[sgprSrdA+2], s[sgprShadowLimitA+0], BufferLimitA // Move shadow to real if we are within 2^32


/* SRDs += (StaggerUIter) * GlobalReadIncsB+0 */
s_mul_hi_u32 s65, s[sgprStaggerUIter], s[sgprGlobalReadIncsB+0] //  stagger byte offset
s_mul_i32 s64, s[sgprStaggerUIter], s[sgprGlobalReadIncsB+0] //  stagger byte offset
s_mul_hi_u32 s[sgprWrapUB+1], s[sgprLoopCounterL], s[sgprGlobalReadIncsB+0] // Number of bytes accessed by the unroll loop
s_mul_i32 s[sgprWrapUB+0], s[sgprLoopCounterL], s[sgprGlobalReadIncsB+0] // Number of bytes accessed by the unroll loop
s_sub_u32 s[sgprWrapUB+0], s[sgprGlobalReadIncsB+0], s[sgprWrapUB+0] // remove one iteration
s_subb_u32 s[sgprWrapUB+1], 0, s[sgprWrapUB+1]     // remove one iteration
s_add_u32 s[sgprSrdB+0], s[sgprSrdB+0], s64        // gra SRD += inc(lower)
s_addc_u32  s[sgprSrdB+1], s[sgprSrdB+1], s65      // gra SRD += inc(upper)
s_sub_u32 s[sgprShadowLimitB+0], s[sgprShadowLimitB+0], s64 // limit -= inc)
s_subb_u32 s[sgprShadowLimitB+1], s[sgprShadowLimitB+1], s65 // limit -= inc)
s_cmp_eq_u32 s[sgprShadowLimitB+1], 0              // are we within 2^32?
s_cselect_b32 s[sgprSrdB+2], s[sgprShadowLimitB+0], BufferLimitB // Move shadow to real if we are within 2^32
s_add_u32 s[sgprStaggerUIter], s[sgprStaggerUIter], 2 // Subtract (PGR-1); StaggerUIter now contains target iteration to wrap

/* local read addresses: init pointers a */


/* localReadInitPointers */

/* local read addresses: init pointers b */


/* localReadInitPointers */


/* prefetch: global -> local */

s_cmp_eq_u32 s[sgprLoopCounterL], 0                // at last iteration?
s_cbranch_scc1 ShadowInitStart_10                  // skip to ShadowInitStart iter b/c numIter==0


_buffer_load_b128 v[vgprG2LA+0:vgprG2LA+0+3], v[vgprGlobalReadOffsetA+0], s[sgprSrdA:sgprSrdA+3], 0, offen offset:0 // G -> Reg 0_0_0_0
_buffer_load_b128 v[vgprG2LA+4:vgprG2LA+4+3], v[vgprGlobalReadOffsetA+0], s[sgprSrdA:sgprSrdA+3], s[sgprScalarGlobalReadOffsetA+0], offen offset:0 // G -> Reg 0_0_1_0
_buffer_load_b128 v[vgprG2LA+8:vgprG2LA+8+3], v[vgprGlobalReadOffsetA+0], s[sgprSrdA:sgprSrdA+3], s[sgprScalarGlobalReadOffsetA+1], offen offset:0 // G -> Reg 0_0_2_0
_buffer_load_b128 v[vgprG2LA+12:vgprG2LA+12+3], v[vgprGlobalReadOffsetA+0], s[sgprSrdA:sgprSrdA+3], s[sgprScalarGlobalReadOffsetA+2], offen offset:0 // G -> Reg 0_0_3_0


_buffer_load_b128 v[vgprG2LB+0:vgprG2LB+0+3], v[vgprGlobalReadOffsetB+0], s[sgprSrdB:sgprSrdB+3], 0, offen offset:0 // G -> Reg 0_0_0_0
_buffer_load_b128 v[vgprG2LB+4:vgprG2LB+4+3], v[vgprGlobalReadOffsetB+0], s[sgprSrdB:sgprSrdB+3], s[sgprScalarGlobalReadOffsetB+0], offen offset:0 // G -> Reg 0_0_1_0
_buffer_load_b128 v[vgprG2LB+8:vgprG2LB+8+3], v[vgprGlobalReadOffsetB+0], s[sgprSrdB:sgprSrdB+3], s[sgprScalarGlobalReadOffsetB+1], offen offset:0 // G -> Reg 0_0_2_0
_buffer_load_b128 v[vgprG2LB+12:vgprG2LB+12+3], v[vgprGlobalReadOffsetB+0], s[sgprSrdB:sgprSrdB+3], s[sgprScalarGlobalReadOffsetB+2], offen offset:0 // G -> Reg 0_0_3_0


/* global read inc A loopL */
s_add_u32 s66, s[sgprLoopCounterL], 1              // remove pf(1)
s_cmp_eq_u32 s[sgprStaggerUIter], s66              // Is this wrapIter? (pf)
s_cselect_b32 s64, s[sgprWrapUA+0], s[sgprGlobalReadIncsA+0] // incLower <- ?
s_cselect_b32 s65, s[sgprWrapUA+1], 0              // incUpper <- ?
s_add_u32 s[sgprSrdA+0], s[sgprSrdA+0], s64        // gra SRD += inc(lower)
s_addc_u32  s[sgprSrdA+1], s[sgprSrdA+1], s65      // gra SRD += inc(upper)
s_sub_u32 s[sgprShadowLimitA+0], s[sgprShadowLimitA+0], s64 // limit -= inc)
s_subb_u32 s[sgprShadowLimitA+1], s[sgprShadowLimitA+1], s65 // limit -= inc)
s_cmp_eq_u32 s[sgprShadowLimitA+1], 0              // are we within 2^32?
s_cselect_b32 s[sgprSrdA+2], s[sgprShadowLimitA+0], BufferLimitA // Move shadow to real if we are within 2^32

/* global read inc B loopL */
s_add_u32 s66, s[sgprLoopCounterL], 1              // remove pf(1)
s_cmp_eq_u32 s[sgprStaggerUIter], s66              // Is this wrapIter? (pf)
s_cselect_b32 s64, s[sgprWrapUB+0], s[sgprGlobalReadIncsB+0] // incLower <- ?
s_cselect_b32 s65, s[sgprWrapUB+1], 0              // incUpper <- ?
s_add_u32 s[sgprSrdB+0], s[sgprSrdB+0], s64        // gra SRD += inc(lower)
s_addc_u32  s[sgprSrdB+1], s[sgprSrdB+1], s65      // gra SRD += inc(upper)
s_sub_u32 s[sgprShadowLimitB+0], s[sgprShadowLimitB+0], s64 // limit -= inc)
s_subb_u32 s[sgprShadowLimitB+1], s[sgprShadowLimitB+1], s65 // limit -= inc)
s_cmp_eq_u32 s[sgprShadowLimitB+1], 0              // are we within 2^32?
s_cselect_b32 s[sgprSrdB+2], s[sgprShadowLimitB+0], BufferLimitB // Move shadow to real if we are within 2^32


/******************************************/
/* End setupNewTile, isPap=False             */
/******************************************/

ShadowInitStart_10: // 

s_mov_b32 s[sgprSrdD+2], BufferOOB                 // 
s_mov_b32 s[sgprSrdD+3], Srd127_96                 // Set bits 127_96 in post-loop SRD

s_mov_b32 s[sgprSrdC+2], BufferOOB                 // 
s_mov_b32 s[sgprSrdC+3], Srd127_96                 // Set bits 127_96 in post-loop SRD


s_mul_i32 s66, MT1, s[sgprWorkGroup1]              // <- wg1*MT1
s_mul_hi_u32 s65, s66, s[sgprStrideC1J]            // CScale s66 by Stride
s_mul_i32 s64, s66, s[sgprStrideC1J]               // CScale s66 by Stride
s_lshl_b64 s[64:65], s[64:65], 1                   // scale by bpe
s_add_u32 s[sgprSrdC+0], s[sgprSrdC+0], s64        // add lo to SRD
s_addc_u32 s[sgprSrdC+1], s[sgprSrdC+1], s65       // add hi to SRD
s_mul_hi_u32 s65, s66, s[sgprStrideD1J]            // Scale s66 by Stride
s_mul_i32 s64, s66, s[sgprStrideD1J]               // Scale s66 by Stride
s_lshl_b64 s[64:65], s[64:65], 1                   // scale by bpe
s_add_u32 s[sgprSrdD+0], s[sgprSrdD+0], s64        // add lo to SRD
s_addc_u32 s[sgprSrdD+1], s[sgprSrdD+1], s65       // add hi to SRD

s_mul_hi_u32 s65, s[sgprWorkGroup2], s[sgprStrideCK] // CScale s[sgprWorkGroup2] by Stride
s_mul_i32 s64, s[sgprWorkGroup2], s[sgprStrideCK]  // CScale s[sgprWorkGroup2] by Stride
s_lshl_b64 s[64:65], s[64:65], 1                   // scale by bpe
s_add_u32 s[sgprSrdC+0], s[sgprSrdC+0], s64        // add lo to SRD
s_addc_u32 s[sgprSrdC+1], s[sgprSrdC+1], s65       // add hi to SRD
s_mul_hi_u32 s65, s[sgprWorkGroup2], s[sgprStrideDK] // Scale s[sgprWorkGroup2] by Stride
s_mul_i32 s64, s[sgprWorkGroup2], s[sgprStrideDK]  // Scale s[sgprWorkGroup2] by Stride
s_lshl_b64 s[64:65], s[64:65], 1                   // scale by bpe
s_add_u32 s[sgprSrdD+0], s[sgprSrdD+0], s64        // add lo to SRD
s_addc_u32 s[sgprSrdD+1], s[sgprSrdD+1], s65       // add hi to SRD



/* initC: remove C-tile 0-0 from pool */

/* initC: remove AB-tile 0-64 from pool */
v_accvgpr_write acc0, 0x0                          // initC
v_accvgpr_write acc1, 0x0                          // initC
v_accvgpr_write acc2, 0x0                          // initC
v_accvgpr_write acc3, 0x0                          // initC
v_accvgpr_write acc4, 0x0                          // initC
v_accvgpr_write acc5, 0x0                          // initC
v_accvgpr_write acc6, 0x0                          // initC
v_accvgpr_write acc7, 0x0                          // initC
v_accvgpr_write acc8, 0x0                          // initC
v_accvgpr_write acc9, 0x0                          // initC
v_accvgpr_write acc10, 0x0                         // initC
v_accvgpr_write acc11, 0x0                         // initC
v_accvgpr_write acc12, 0x0                         // initC
v_accvgpr_write acc13, 0x0                         // initC
v_accvgpr_write acc14, 0x0                         // initC
v_accvgpr_write acc15, 0x0                         // initC
v_accvgpr_write acc16, 0x0                         // initC
v_accvgpr_write acc17, 0x0                         // initC
v_accvgpr_write acc18, 0x0                         // initC
v_accvgpr_write acc19, 0x0                         // initC
v_accvgpr_write acc20, 0x0                         // initC
v_accvgpr_write acc21, 0x0                         // initC
v_accvgpr_write acc22, 0x0                         // initC
v_accvgpr_write acc23, 0x0                         // initC
v_accvgpr_write acc24, 0x0                         // initC
v_accvgpr_write acc25, 0x0                         // initC
v_accvgpr_write acc26, 0x0                         // initC
v_accvgpr_write acc27, 0x0                         // initC
v_accvgpr_write acc28, 0x0                         // initC
v_accvgpr_write acc29, 0x0                         // initC
v_accvgpr_write acc30, 0x0                         // initC
v_accvgpr_write acc31, 0x0                         // initC
v_accvgpr_write acc32, 0x0                         // initC
v_accvgpr_write acc33, 0x0                         // initC
v_accvgpr_write acc34, 0x0                         // initC
v_accvgpr_write acc35, 0x0                         // initC
v_accvgpr_write acc36, 0x0                         // initC
v_accvgpr_write acc37, 0x0                         // initC
v_accvgpr_write acc38, 0x0                         // initC
v_accvgpr_write acc39, 0x0                         // initC
v_accvgpr_write acc40, 0x0                         // initC
v_accvgpr_write acc41, 0x0                         // initC
v_accvgpr_write acc42, 0x0                         // initC
v_accvgpr_write acc43, 0x0                         // initC
v_accvgpr_write acc44, 0x0                         // initC
v_accvgpr_write acc45, 0x0                         // initC
v_accvgpr_write acc46, 0x0                         // initC
v_accvgpr_write acc47, 0x0                         // initC
v_accvgpr_write acc48, 0x0                         // initC
v_accvgpr_write acc49, 0x0                         // initC
v_accvgpr_write acc50, 0x0                         // initC
v_accvgpr_write acc51, 0x0                         // initC
v_accvgpr_write acc52, 0x0                         // initC
v_accvgpr_write acc53, 0x0                         // initC
v_accvgpr_write acc54, 0x0                         // initC
v_accvgpr_write acc55, 0x0                         // initC
v_accvgpr_write acc56, 0x0                         // initC
v_accvgpr_write acc57, 0x0                         // initC
v_accvgpr_write acc58, 0x0                         // initC
v_accvgpr_write acc59, 0x0                         // initC
v_accvgpr_write acc60, 0x0                         // initC
v_accvgpr_write acc61, 0x0                         // initC
v_accvgpr_write acc62, 0x0                         // initC
v_accvgpr_write acc63, 0x0                         // initC
v_accvgpr_write acc64, 0x0                         // initC
v_accvgpr_write acc65, 0x0                         // initC
v_accvgpr_write acc66, 0x0                         // initC
v_accvgpr_write acc67, 0x0                         // initC
v_accvgpr_write acc68, 0x0                         // initC
v_accvgpr_write acc69, 0x0                         // initC
v_accvgpr_write acc70, 0x0                         // initC
v_accvgpr_write acc71, 0x0                         // initC
v_accvgpr_write acc72, 0x0                         // initC
v_accvgpr_write acc73, 0x0                         // initC
v_accvgpr_write acc74, 0x0                         // initC
v_accvgpr_write acc75, 0x0                         // initC
v_accvgpr_write acc76, 0x0                         // initC
v_accvgpr_write acc77, 0x0                         // initC
v_accvgpr_write acc78, 0x0                         // initC
v_accvgpr_write acc79, 0x0                         // initC
v_accvgpr_write acc80, 0x0                         // initC
v_accvgpr_write acc81, 0x0                         // initC
v_accvgpr_write acc82, 0x0                         // initC
v_accvgpr_write acc83, 0x0                         // initC
v_accvgpr_write acc84, 0x0                         // initC
v_accvgpr_write acc85, 0x0                         // initC
v_accvgpr_write acc86, 0x0                         // initC
v_accvgpr_write acc87, 0x0                         // initC
v_accvgpr_write acc88, 0x0                         // initC
v_accvgpr_write acc89, 0x0                         // initC
v_accvgpr_write acc90, 0x0                         // initC
v_accvgpr_write acc91, 0x0                         // initC
v_accvgpr_write acc92, 0x0                         // initC
v_accvgpr_write acc93, 0x0                         // initC
v_accvgpr_write acc94, 0x0                         // initC
v_accvgpr_write acc95, 0x0                         // initC
v_accvgpr_write acc96, 0x0                         // initC
v_accvgpr_write acc97, 0x0                         // initC
v_accvgpr_write acc98, 0x0                         // initC
v_accvgpr_write acc99, 0x0                         // initC
v_accvgpr_write acc100, 0x0                        // initC
v_accvgpr_write acc101, 0x0                        // initC
v_accvgpr_write acc102, 0x0                        // initC
v_accvgpr_write acc103, 0x0                        // initC
v_accvgpr_write acc104, 0x0                        // initC
v_accvgpr_write acc105, 0x0                        // initC
v_accvgpr_write acc106, 0x0                        // initC
v_accvgpr_write acc107, 0x0                        // initC
v_accvgpr_write acc108, 0x0                        // initC
v_accvgpr_write acc109, 0x0                        // initC
v_accvgpr_write acc110, 0x0                        // initC
v_accvgpr_write acc111, 0x0                        // initC
v_accvgpr_write acc112, 0x0                        // initC
v_accvgpr_write acc113, 0x0                        // initC
v_accvgpr_write acc114, 0x0                        // initC
v_accvgpr_write acc115, 0x0                        // initC
v_accvgpr_write acc116, 0x0                        // initC
v_accvgpr_write acc117, 0x0                        // initC
v_accvgpr_write acc118, 0x0                        // initC
v_accvgpr_write acc119, 0x0                        // initC
v_accvgpr_write acc120, 0x0                        // initC
v_accvgpr_write acc121, 0x0                        // initC
v_accvgpr_write acc122, 0x0                        // initC
v_accvgpr_write acc123, 0x0                        // initC
v_accvgpr_write acc124, 0x0                        // initC
v_accvgpr_write acc125, 0x0                        // initC
v_accvgpr_write acc126, 0x0                        // initC
v_accvgpr_write acc127, 0x0                        // initC
v_accvgpr_write acc128, 0x0                        // initC
v_accvgpr_write acc129, 0x0                        // initC
v_accvgpr_write acc130, 0x0                        // initC
v_accvgpr_write acc131, 0x0                        // initC
v_accvgpr_write acc132, 0x0                        // initC
v_accvgpr_write acc133, 0x0                        // initC
v_accvgpr_write acc134, 0x0                        // initC
v_accvgpr_write acc135, 0x0                        // initC
v_accvgpr_write acc136, 0x0                        // initC
v_accvgpr_write acc137, 0x0                        // initC
v_accvgpr_write acc138, 0x0                        // initC
v_accvgpr_write acc139, 0x0                        // initC
v_accvgpr_write acc140, 0x0                        // initC
v_accvgpr_write acc141, 0x0                        // initC
v_accvgpr_write acc142, 0x0                        // initC
v_accvgpr_write acc143, 0x0                        // initC
v_accvgpr_write acc144, 0x0                        // initC
v_accvgpr_write acc145, 0x0                        // initC
v_accvgpr_write acc146, 0x0                        // initC
v_accvgpr_write acc147, 0x0                        // initC
v_accvgpr_write acc148, 0x0                        // initC
v_accvgpr_write acc149, 0x0                        // initC
v_accvgpr_write acc150, 0x0                        // initC
v_accvgpr_write acc151, 0x0                        // initC
v_accvgpr_write acc152, 0x0                        // initC
v_accvgpr_write acc153, 0x0                        // initC
v_accvgpr_write acc154, 0x0                        // initC
v_accvgpr_write acc155, 0x0                        // initC
v_accvgpr_write acc156, 0x0                        // initC
v_accvgpr_write acc157, 0x0                        // initC
v_accvgpr_write acc158, 0x0                        // initC
v_accvgpr_write acc159, 0x0                        // initC
v_accvgpr_write acc160, 0x0                        // initC
v_accvgpr_write acc161, 0x0                        // initC
v_accvgpr_write acc162, 0x0                        // initC
v_accvgpr_write acc163, 0x0                        // initC
v_accvgpr_write acc164, 0x0                        // initC
v_accvgpr_write acc165, 0x0                        // initC
v_accvgpr_write acc166, 0x0                        // initC
v_accvgpr_write acc167, 0x0                        // initC
v_accvgpr_write acc168, 0x0                        // initC
v_accvgpr_write acc169, 0x0                        // initC
v_accvgpr_write acc170, 0x0                        // initC
v_accvgpr_write acc171, 0x0                        // initC
v_accvgpr_write acc172, 0x0                        // initC
v_accvgpr_write acc173, 0x0                        // initC
v_accvgpr_write acc174, 0x0                        // initC
v_accvgpr_write acc175, 0x0                        // initC
v_accvgpr_write acc176, 0x0                        // initC
v_accvgpr_write acc177, 0x0                        // initC
v_accvgpr_write acc178, 0x0                        // initC
v_accvgpr_write acc179, 0x0                        // initC
v_accvgpr_write acc180, 0x0                        // initC
v_accvgpr_write acc181, 0x0                        // initC
v_accvgpr_write acc182, 0x0                        // initC
v_accvgpr_write acc183, 0x0                        // initC
v_accvgpr_write acc184, 0x0                        // initC
v_accvgpr_write acc185, 0x0                        // initC
v_accvgpr_write acc186, 0x0                        // initC
v_accvgpr_write acc187, 0x0                        // initC
v_accvgpr_write acc188, 0x0                        // initC
v_accvgpr_write acc189, 0x0                        // initC
v_accvgpr_write acc190, 0x0                        // initC
v_accvgpr_write acc191, 0x0                        // initC
v_accvgpr_write acc192, 0x0                        // initC
v_accvgpr_write acc193, 0x0                        // initC
v_accvgpr_write acc194, 0x0                        // initC
v_accvgpr_write acc195, 0x0                        // initC
v_accvgpr_write acc196, 0x0                        // initC
v_accvgpr_write acc197, 0x0                        // initC
v_accvgpr_write acc198, 0x0                        // initC
v_accvgpr_write acc199, 0x0                        // initC
v_accvgpr_write acc200, 0x0                        // initC
v_accvgpr_write acc201, 0x0                        // initC
v_accvgpr_write acc202, 0x0                        // initC
v_accvgpr_write acc203, 0x0                        // initC
v_accvgpr_write acc204, 0x0                        // initC
v_accvgpr_write acc205, 0x0                        // initC
v_accvgpr_write acc206, 0x0                        // initC
v_accvgpr_write acc207, 0x0                        // initC
v_accvgpr_write acc208, 0x0                        // initC
v_accvgpr_write acc209, 0x0                        // initC
v_accvgpr_write acc210, 0x0                        // initC
v_accvgpr_write acc211, 0x0                        // initC
v_accvgpr_write acc212, 0x0                        // initC
v_accvgpr_write acc213, 0x0                        // initC
v_accvgpr_write acc214, 0x0                        // initC
v_accvgpr_write acc215, 0x0                        // initC
v_accvgpr_write acc216, 0x0                        // initC
v_accvgpr_write acc217, 0x0                        // initC
v_accvgpr_write acc218, 0x0                        // initC
v_accvgpr_write acc219, 0x0                        // initC
v_accvgpr_write acc220, 0x0                        // initC
v_accvgpr_write acc221, 0x0                        // initC
v_accvgpr_write acc222, 0x0                        // initC
v_accvgpr_write acc223, 0x0                        // initC
v_accvgpr_write acc224, 0x0                        // initC
v_accvgpr_write acc225, 0x0                        // initC
v_accvgpr_write acc226, 0x0                        // initC
v_accvgpr_write acc227, 0x0                        // initC
v_accvgpr_write acc228, 0x0                        // initC
v_accvgpr_write acc229, 0x0                        // initC
v_accvgpr_write acc230, 0x0                        // initC
v_accvgpr_write acc231, 0x0                        // initC
v_accvgpr_write acc232, 0x0                        // initC
v_accvgpr_write acc233, 0x0                        // initC
v_accvgpr_write acc234, 0x0                        // initC
v_accvgpr_write acc235, 0x0                        // initC
v_accvgpr_write acc236, 0x0                        // initC
v_accvgpr_write acc237, 0x0                        // initC
v_accvgpr_write acc238, 0x0                        // initC
v_accvgpr_write acc239, 0x0                        // initC
v_accvgpr_write acc240, 0x0                        // initC
v_accvgpr_write acc241, 0x0                        // initC
v_accvgpr_write acc242, 0x0                        // initC
v_accvgpr_write acc243, 0x0                        // initC
v_accvgpr_write acc244, 0x0                        // initC
v_accvgpr_write acc245, 0x0                        // initC
v_accvgpr_write acc246, 0x0                        // initC
v_accvgpr_write acc247, 0x0                        // initC
v_accvgpr_write acc248, 0x0                        // initC
v_accvgpr_write acc249, 0x0                        // initC
v_accvgpr_write acc250, 0x0                        // initC
v_accvgpr_write acc251, 0x0                        // initC
v_accvgpr_write acc252, 0x0                        // initC
v_accvgpr_write acc253, 0x0                        // initC
v_accvgpr_write acc254, 0x0                        // initC
v_accvgpr_write acc255, 0x0                        // initC

s_cmp_eq_u32 s[sgprLoopCounterL], 0                // at last iteration?

/* after InitC, skip to end of prefetch last iter if numIter==0 */
s_cbranch_scc0 label_NoBranch_11                   // Only branch on scc1
s_getpc_B64 s[64:65]                               // addr of next instr
s_add_i32 s66, PrefetchGlobalLastIterEnd_5, 0x4    // target branch offset
s_add_u32 s64, s64, s66                            // add target branch offset
s_addc_u32 s65, s65, 0                             // add high and carry
s_setpc_b64 s[64:65]                               // branch to PrefetchGlobalLastIterEnd_5
label_NoBranch_11:

s_waitcnt vmcnt(0)                                 // lgkmcnt=-1 vmcnt=0 8wait for global read


/* local write a */
_ds_store_b128 v[vgprLocalWriteAddrA], v[vgprG2LA+0:vgprG2LA+0+3] offset:0 // lwoA_0_0_0_0 = (0*LSCA)*(MT0I+PAD) + (0*LSPA) = 0
_ds_store_b128 v[vgprLocalWriteAddrA], v[vgprG2LA+4:vgprG2LA+4+3] offset:1152 // lwoA_0_0_1_0 = (0*LSCA)*(MT0I+PAD) + (1*LSPA) = 1152
_ds_store_b128 v[vgprLocalWriteAddrA], v[vgprG2LA+8:vgprG2LA+8+3] offset:2304 // lwoA_0_0_2_0 = (0*LSCA)*(MT0I+PAD) + (2*LSPA) = 2304
_ds_store_b128 v[vgprLocalWriteAddrA], v[vgprG2LA+12:vgprG2LA+12+3] offset:3456 // lwoA_0_0_3_0 = (0*LSCA)*(MT0I+PAD) + (3*LSPA) = 3456

/* local write b */
_ds_store_b128 v[vgprLocalWriteAddrB], v[vgprG2LB+0:vgprG2LB+0+3] offset:0 // lwoB_0_0_0_0 = (0*LSCB)*(MT1J+PAD) + (0*LSPB) = 0
_ds_store_b128 v[vgprLocalWriteAddrB], v[vgprG2LB+4:vgprG2LB+4+3] offset:4608 // lwoB_0_0_1_0 = (0*LSCB)*(MT1J+PAD) + (1*LSPB) = 4608
_ds_store_b128 v[vgprLocalWriteAddrB], v[vgprG2LB+8:vgprG2LB+8+3] offset:9216 // lwoB_0_0_2_0 = (0*LSCB)*(MT1J+PAD) + (2*LSPB) = 9216
_ds_store_b128 v[vgprLocalWriteAddrB], v[vgprG2LB+12:vgprG2LB+12+3] offset:13824 // lwoB_0_0_3_0 = (0*LSCB)*(MT1J+PAD) + (3*LSPB) = 13824


/* local write swap a */


	;; [unrolled: 1-line block ×3, first 2 shown]
/* local write swap b */


	;; [unrolled: 1-line block ×4, first 2 shown]
s_cmp_eq_u32 s[sgprLoopCounterL] 0x1               // PGR=2 but only 1 loop
s_cbranch_scc1 label_0012                          // PGR=2 but only 1 loop


_buffer_load_b128 v[vgprG2LA+0:vgprG2LA+0+3], v[vgprGlobalReadOffsetA+0], s[sgprSrdA:sgprSrdA+3], 0, offen offset:0 // G -> Reg 0_0_0_0
_buffer_load_b128 v[vgprG2LA+4:vgprG2LA+4+3], v[vgprGlobalReadOffsetA+0], s[sgprSrdA:sgprSrdA+3], s[sgprScalarGlobalReadOffsetA+0], offen offset:0 // G -> Reg 0_0_1_0
_buffer_load_b128 v[vgprG2LA+8:vgprG2LA+8+3], v[vgprGlobalReadOffsetA+0], s[sgprSrdA:sgprSrdA+3], s[sgprScalarGlobalReadOffsetA+1], offen offset:0 // G -> Reg 0_0_2_0
_buffer_load_b128 v[vgprG2LA+12:vgprG2LA+12+3], v[vgprGlobalReadOffsetA+0], s[sgprSrdA:sgprSrdA+3], s[sgprScalarGlobalReadOffsetA+2], offen offset:0 // G -> Reg 0_0_3_0


_buffer_load_b128 v[vgprG2LB+0:vgprG2LB+0+3], v[vgprGlobalReadOffsetB+0], s[sgprSrdB:sgprSrdB+3], 0, offen offset:0 // G -> Reg 0_0_0_0
_buffer_load_b128 v[vgprG2LB+4:vgprG2LB+4+3], v[vgprGlobalReadOffsetB+0], s[sgprSrdB:sgprSrdB+3], s[sgprScalarGlobalReadOffsetB+0], offen offset:0 // G -> Reg 0_0_1_0
_buffer_load_b128 v[vgprG2LB+8:vgprG2LB+8+3], v[vgprGlobalReadOffsetB+0], s[sgprSrdB:sgprSrdB+3], s[sgprScalarGlobalReadOffsetB+1], offen offset:0 // G -> Reg 0_0_2_0
_buffer_load_b128 v[vgprG2LB+12:vgprG2LB+12+3], v[vgprGlobalReadOffsetB+0], s[sgprSrdB:sgprSrdB+3], s[sgprScalarGlobalReadOffsetB+2], offen offset:0 // G -> Reg 0_0_3_0

label_0012:                                        // 

s_waitcnt lgkmcnt(0)                               // lgkmcnt=0 vmcnt=-10prefetch wait for local write

// Skip force waitcnt0
s_barrier //


/* local read prefetch a */

_ds_load_b128 v[vgprValuA_X0_I0+0:vgprValuA_X0_I0+0+3], v[vgprLocalReadAddrA] offset:0 // L -> Reg lro=0 swapByteOffset=0 ti=128 vIdx=0 rIdx=0 oIdx=0 buffer=0 iui=0
_ds_load_b128 v[vgprValuA_X0_I0+4:vgprValuA_X0_I0+4+3], v[vgprLocalReadAddrA] offset:64 // L -> Reg lro=0 swapByteOffset=0 ti=128 vIdx=0 rIdx=0 oIdx=0 buffer=0 iui=0
	;; [unrolled: 1-line block ×4, first 2 shown]


/* local read prefetch b */

_ds_load_b128 v[vgprValuB_X0_I0+0:vgprValuB_X0_I0+0+3], v[vgprLocalReadAddrB] offset:0 // L -> Reg lro=0 swapByteOffset=0 ti=64 vIdx=0 rIdx=0 oIdx=0 buffer=0 iui=0
_ds_load_b128 v[vgprValuB_X0_I0+4:vgprValuB_X0_I0+4+3], v[vgprLocalReadAddrB] offset:4608 // L -> Reg lro=0 swapByteOffset=0 ti=64 vIdx=1 rIdx=0 oIdx=0 buffer=0 iui=0
	;; [unrolled: 1-line block ×4, first 2 shown]


/* local read inc a */

/* N/A, lro->16 */
/* self.localReadDoCntA 1 self.localReadDoCntB 1 */


/* local read inc b */

/* N/A, lro->16 */
/* self.localReadDoCntA 1 self.localReadDoCntB 1 */


	;; [unrolled: 1-line block ×3, first 2 shown]
/******************************************/
/* Unrolled Loop(s) - Begin               */
/******************************************/

openLoopL_13:
s_cmp_eq_u32 s[sgprLoopCounterL], 0x1              // LoopCounterL < EndCounter
s_cbranch_scc1 label_0014                          // PGR=2 but only 1 loop, toPGR1
s_cmp_le_u32 s[sgprLoopCounterL], 0x2              // LoopCounterL < EndCounter
s_cbranch_scc1 LoopEndL_evenexit_4                 // do not enter LoopL
LoopBeginL_1:


/******************************************/
/* Unrolled Loop 1/2 - Begin              */
/******************************************/

label_0015: // LoopCopy1 


/* Begin Each Unroll: Check VGPR.checkin for INT8 LW */



/* iter 0 */

/*  grEndMfmaIndex:6, lwStartMfmaIndex:15, lwEndMfmaIndex:49  */
/*  numMfmaForLR:13, barrierMfmaIndex:50, LocalWritePerMfma:0.210 */
/*  mfmaIndex:0  */
s_waitcnt lgkmcnt(0)                               // lgkmcnt=0 vmcnt=-1wait for prior local read local write old=0, new=0 newLW=0 newLR=0
v_mfma_f32_32x32x8_bf16 a[0+0:15+0], v[vgprValuB_X0_I0+0+0+0:vgprValuB_X0_I0+0+0+0+1], v[vgprValuA_X0_I0+0+0+0:vgprValuA_X0_I0+0+0+0+1], a[0:15]
/*  mfmaIndex:1  */
_ds_load_b128 v[vgprValuA_X2_I0+0:vgprValuA_X2_I0+0+3], v[vgprLocalReadAddrA] offset:32 // L -> Reg lro=16 swapByteOffset=0 ti=128 vIdx=0 rIdx=0 oIdx=0 buffer=2 iui=0

/* global read inc A loopL */
s_cmp_eq_u32 s[sgprLoopCounterL], s[sgprStaggerUIter] // Is this the wrapIter?
s_cselect_b32 s64, s[sgprWrapUA+0], s[sgprGlobalReadIncsA+0] // incLower <- ?
s_cselect_b32 s65, s[sgprWrapUA+1], 0              // incUpper <- ?
v_mfma_f32_32x32x8_bf16 a[16+0:31+0], v[vgprValuB_X0_I0+0+0+0:vgprValuB_X0_I0+0+0+0+1], v[vgprValuA_X0_I0+4+0+0:vgprValuA_X0_I0+4+0+0+1], a[16:31]
/*  mfmaIndex:2  */
_ds_load_b128 v[vgprValuB_X2_I0+0:vgprValuB_X2_I0+0+3], v[vgprLocalReadAddrB] offset:32 // L -> Reg lro=16 swapByteOffset=0 ti=64 vIdx=0 rIdx=0 oIdx=0 buffer=2 iui=0
s_add_u32 s[sgprSrdA+0], s[sgprSrdA+0], s64        // gra SRD += inc(lower)
s_addc_u32  s[sgprSrdA+1], s[sgprSrdA+1], s65      // gra SRD += inc(upper)
s_sub_u32 s[sgprShadowLimitA+0], s[sgprShadowLimitA+0], s64 // limit -= inc)
v_mfma_f32_32x32x8_bf16 a[32+0:47+0], v[vgprValuB_X0_I0+0+0+0:vgprValuB_X0_I0+0+0+0+1], v[vgprValuA_X0_I0+8+0+0:vgprValuA_X0_I0+8+0+0+1], a[32:47]
/*  mfmaIndex:3  */
_ds_load_b128 v[vgprValuA_X2_I0+4:vgprValuA_X2_I0+4+3], v[vgprLocalReadAddrA] offset:96 // L -> Reg lro=16 swapByteOffset=0 ti=128 vIdx=0 rIdx=0 oIdx=0 buffer=2 iui=0
s_subb_u32 s[sgprShadowLimitA+1], s[sgprShadowLimitA+1], s65 // limit -= inc)
s_cmp_eq_u32 s[sgprShadowLimitA+1], 0              // are we within 2^32?
s_cselect_b32 s[sgprSrdA+2], s[sgprShadowLimitA+0], BufferLimitA // Move shadow to real if we are within 2^32
v_mfma_f32_32x32x8_bf16 a[48+0:63+0], v[vgprValuB_X0_I0+0+0+0:vgprValuB_X0_I0+0+0+0+1], v[vgprValuA_X0_I0+12+0+0:vgprValuA_X0_I0+12+0+0+1], a[48:63]
/*  mfmaIndex:4  */
_ds_load_b128 v[vgprValuA_X2_I0+8:vgprValuA_X2_I0+8+3], v[vgprLocalReadAddrA] offset:9248 // L -> Reg lro=16 swapByteOffset=0 ti=128 vIdx=1 rIdx=0 oIdx=0 buffer=2 iui=0

/* global read inc B loopL */
s_cmp_eq_u32 s[sgprLoopCounterL], s[sgprStaggerUIter] // Is this the wrapIter?
s_cselect_b32 s64, s[sgprWrapUB+0], s[sgprGlobalReadIncsB+0] // incLower <- ?
s_cselect_b32 s65, s[sgprWrapUB+1], 0              // incUpper <- ?
v_mfma_f32_32x32x8_bf16 a[112+0:127+0], v[vgprValuB_X0_I0+4+0+0:vgprValuB_X0_I0+4+0+0+1], v[vgprValuA_X0_I0+12+0+0:vgprValuA_X0_I0+12+0+0+1], a[112:127]
/*  mfmaIndex:5  */
_ds_load_b128 v[vgprValuA_X2_I0+12:vgprValuA_X2_I0+12+3], v[vgprLocalReadAddrA] offset:9312 // L -> Reg lro=16 swapByteOffset=0 ti=128 vIdx=1 rIdx=0 oIdx=0 buffer=2 iui=0
s_add_u32 s[sgprSrdB+0], s[sgprSrdB+0], s64        // gra SRD += inc(lower)
s_addc_u32  s[sgprSrdB+1], s[sgprSrdB+1], s65      // gra SRD += inc(upper)
s_sub_u32 s[sgprShadowLimitB+0], s[sgprShadowLimitB+0], s64 // limit -= inc)
v_mfma_f32_32x32x8_bf16 a[96+0:111+0], v[vgprValuB_X0_I0+4+0+0:vgprValuB_X0_I0+4+0+0+1], v[vgprValuA_X0_I0+8+0+0:vgprValuA_X0_I0+8+0+0+1], a[96:111]
/*  mfmaIndex:6  */
_ds_load_b128 v[vgprValuB_X2_I0+4:vgprValuB_X2_I0+4+3], v[vgprLocalReadAddrB] offset:4640 // L -> Reg lro=16 swapByteOffset=0 ti=64 vIdx=1 rIdx=0 oIdx=0 buffer=2 iui=0
s_subb_u32 s[sgprShadowLimitB+1], s[sgprShadowLimitB+1], s65 // limit -= inc)
s_cmp_eq_u32 s[sgprShadowLimitB+1], 0              // are we within 2^32?
s_cselect_b32 s[sgprSrdB+2], s[sgprShadowLimitB+0], BufferLimitB // Move shadow to real if we are within 2^32
v_mfma_f32_32x32x8_bf16 a[80+0:95+0], v[vgprValuB_X0_I0+4+0+0:vgprValuB_X0_I0+4+0+0+1], v[vgprValuA_X0_I0+4+0+0:vgprValuA_X0_I0+4+0+0+1], a[80:95]
/*  mfmaIndex:7  */
_ds_load_b128 v[vgprValuB_X2_I0+8:vgprValuB_X2_I0+8+3], v[vgprLocalReadAddrB] offset:9248 // L -> Reg lro=16 swapByteOffset=0 ti=64 vIdx=2 rIdx=0 oIdx=0 buffer=2 iui=0
v_mfma_f32_32x32x8_bf16 a[64+0:79+0], v[vgprValuB_X0_I0+4+0+0:vgprValuB_X0_I0+4+0+0+1], v[vgprValuA_X0_I0+0+0+0:vgprValuA_X0_I0+0+0+0+1], a[64:79]
/*  mfmaIndex:8  */
_ds_load_b128 v[vgprValuB_X2_I0+12:vgprValuB_X2_I0+12+3], v[vgprLocalReadAddrB] offset:13856 // L -> Reg lro=16 swapByteOffset=0 ti=64 vIdx=3 rIdx=0 oIdx=0 buffer=2 iui=0
/* localReadsVacancy: latencyLeft 2 */
v_mfma_f32_32x32x8_bf16 a[128+0:143+0], v[vgprValuB_X0_I0+8+0+0:vgprValuB_X0_I0+8+0+0+1], v[vgprValuA_X0_I0+0+0+0:vgprValuA_X0_I0+0+0+0+1], a[128:143]
/*  mfmaIndex:9  */
/* localReadsVacancy: latencyLeft 6 */
v_mfma_f32_32x32x8_bf16 a[144+0:159+0], v[vgprValuB_X0_I0+8+0+0:vgprValuB_X0_I0+8+0+0+1], v[vgprValuA_X0_I0+4+0+0:vgprValuA_X0_I0+4+0+0+1], a[144:159]
/*  mfmaIndex:10  */
	;; [unrolled: 3-line block ×6, first 2 shown]
/* localReadsVacancy: latencyLeft 6 */
/* 1 LDS buffer: read-sync-write */
s_waitcnt lgkmcnt(0)                               // 
s_barrier                                          // 
v_mfma_f32_32x32x8_bf16 a[208+0:223+0], v[vgprValuB_X0_I0+12+0+0:vgprValuB_X0_I0+12+0+0+1], v[vgprValuA_X0_I0+4+0+0:vgprValuA_X0_I0+4+0+0+1], a[208:223]
/*  mfmaIndex:15  */
/* sched write - iter 0 writesPerItem=1 */
s_waitcnt vmcnt(0)                                 // lgkmcnt=-1 vmcnt=0wait for global read before writing to local
_ds_store_b128 v[vgprLocalWriteAddrA], v[vgprG2LA+0:vgprG2LA+0+3] offset:0 // lwoA_0_0_0_0 = (0*LSCA)*(MT0I+PAD) + (0*LSPA) = 0
v_mfma_f32_32x32x8_bf16 a[192+0:207+0], v[vgprValuB_X0_I0+12+0+0:vgprValuB_X0_I0+12+0+0+1], v[vgprValuA_X0_I0+0+0+0:vgprValuA_X0_I0+0+0+0+1], a[192:207]
/* numPrefetchIter=0 */
/* dataAtIterA=-1 numReadsIterA=1 skipReadsIterA=1 readsPerIterA=4 */
/* dataAtIterB=-1 numReadsIterB=1 skipReadsIterB=1 readsPerIterB=4 */


/* iter 1 */

/*  grEndMfmaIndex:6, lwStartMfmaIndex:15, lwEndMfmaIndex:49  */
/*  numMfmaForLR:13, barrierMfmaIndex:50, LocalWritePerMfma:0.210 */
/*  mfmaIndex:16  */
_buffer_load_b128 v[vgprG2LA+0:vgprG2LA+0+3], v[vgprGlobalReadOffsetA+0], s[sgprSrdA:sgprSrdA+3], 0, offen offset:0 // G -> Reg 0_0_0_0
v_mfma_f32_32x32x8_bf16 a[0+0:15+0], v[vgprValuB_X0_I0+0+2+0:vgprValuB_X0_I0+0+2+0+1], v[vgprValuA_X0_I0+0+2+0:vgprValuA_X0_I0+0+2+0+1], a[0:15]
/*  mfmaIndex:17  */
v_mfma_f32_32x32x8_bf16 a[16+0:31+0], v[vgprValuB_X0_I0+0+2+0:vgprValuB_X0_I0+0+2+0+1], v[vgprValuA_X0_I0+4+2+0:vgprValuA_X0_I0+4+2+0+1], a[16:31]
/*  mfmaIndex:18  */
	;; [unrolled: 2-line block ×3, first 2 shown]
/* sched write - iter 1 writesPerItem=1 */
s_waitcnt vmcnt(0)                                 // lgkmcnt=-1 vmcnt=0wait for global read before writing to local
_ds_store_b128 v[vgprLocalWriteAddrA], v[vgprG2LA+4:vgprG2LA+4+3] offset:1152 // lwoA_0_0_1_0 = (0*LSCA)*(MT0I+PAD) + (1*LSPA) = 1152
v_mfma_f32_32x32x8_bf16 a[48+0:63+0], v[vgprValuB_X0_I0+0+2+0:vgprValuB_X0_I0+0+2+0+1], v[vgprValuA_X0_I0+12+2+0:vgprValuA_X0_I0+12+2+0+1], a[48:63]
/*  mfmaIndex:20  */
_buffer_load_b128 v[vgprG2LA+4:vgprG2LA+4+3], v[vgprGlobalReadOffsetA+0], s[sgprSrdA:sgprSrdA+3], s[sgprScalarGlobalReadOffsetA+0], offen offset:0 // G -> Reg 0_0_1_0
v_mfma_f32_32x32x8_bf16 a[112+0:127+0], v[vgprValuB_X0_I0+4+2+0:vgprValuB_X0_I0+4+2+0+1], v[vgprValuA_X0_I0+12+2+0:vgprValuA_X0_I0+12+2+0+1], a[112:127]
/*  mfmaIndex:21  */
v_mfma_f32_32x32x8_bf16 a[96+0:111+0], v[vgprValuB_X0_I0+4+2+0:vgprValuB_X0_I0+4+2+0+1], v[vgprValuA_X0_I0+8+2+0:vgprValuA_X0_I0+8+2+0+1], a[96:111]
/*  mfmaIndex:22  */
	;; [unrolled: 2-line block ×4, first 2 shown]
/* sched write - iter 1 writesPerItem=1 */
s_waitcnt vmcnt(0)                                 // lgkmcnt=-1 vmcnt=0wait for global read before writing to local
_ds_store_b128 v[vgprLocalWriteAddrA], v[vgprG2LA+8:vgprG2LA+8+3] offset:2304 // lwoA_0_0_2_0 = (0*LSCA)*(MT0I+PAD) + (2*LSPA) = 2304
v_mfma_f32_32x32x8_bf16 a[128+0:143+0], v[vgprValuB_X0_I0+8+2+0:vgprValuB_X0_I0+8+2+0+1], v[vgprValuA_X0_I0+0+2+0:vgprValuA_X0_I0+0+2+0+1], a[128:143]
/*  mfmaIndex:25  */
_buffer_load_b128 v[vgprG2LA+8:vgprG2LA+8+3], v[vgprGlobalReadOffsetA+0], s[sgprSrdA:sgprSrdA+3], s[sgprScalarGlobalReadOffsetA+1], offen offset:0 // G -> Reg 0_0_2_0
v_mfma_f32_32x32x8_bf16 a[144+0:159+0], v[vgprValuB_X0_I0+8+2+0:vgprValuB_X0_I0+8+2+0+1], v[vgprValuA_X0_I0+4+2+0:vgprValuA_X0_I0+4+2+0+1], a[144:159]
/*  mfmaIndex:26  */
v_mfma_f32_32x32x8_bf16 a[160+0:175+0], v[vgprValuB_X0_I0+8+2+0:vgprValuB_X0_I0+8+2+0+1], v[vgprValuA_X0_I0+8+2+0:vgprValuA_X0_I0+8+2+0+1], a[160:175]
/*  mfmaIndex:27  */
	;; [unrolled: 2-line block ×4, first 2 shown]
/* sched write - iter 1 writesPerItem=1 */
s_waitcnt vmcnt(0)                                 // lgkmcnt=-1 vmcnt=0wait for global read before writing to local
_ds_store_b128 v[vgprLocalWriteAddrA], v[vgprG2LA+12:vgprG2LA+12+3] offset:3456 // lwoA_0_0_3_0 = (0*LSCA)*(MT0I+PAD) + (3*LSPA) = 3456
v_mfma_f32_32x32x8_bf16 a[224+0:239+0], v[vgprValuB_X0_I0+12+2+0:vgprValuB_X0_I0+12+2+0+1], v[vgprValuA_X0_I0+8+2+0:vgprValuA_X0_I0+8+2+0+1], a[224:239]
/*  mfmaIndex:30  */
_buffer_load_b128 v[vgprG2LA+12:vgprG2LA+12+3], v[vgprGlobalReadOffsetA+0], s[sgprSrdA:sgprSrdA+3], s[sgprScalarGlobalReadOffsetA+2], offen offset:0 // G -> Reg 0_0_3_0
v_mfma_f32_32x32x8_bf16 a[208+0:223+0], v[vgprValuB_X0_I0+12+2+0:vgprValuB_X0_I0+12+2+0+1], v[vgprValuA_X0_I0+4+2+0:vgprValuA_X0_I0+4+2+0+1], a[208:223]
/*  mfmaIndex:31  */
v_mfma_f32_32x32x8_bf16 a[192+0:207+0], v[vgprValuB_X0_I0+12+2+0:vgprValuB_X0_I0+12+2+0+1], v[vgprValuA_X0_I0+0+2+0:vgprValuA_X0_I0+0+2+0+1], a[192:207]


/* iter 2 (reset local read pointers iteration)  (swap local read pointers iteration)  */

/*  grEndMfmaIndex:6, lwStartMfmaIndex:15, lwEndMfmaIndex:49  */
/*  numMfmaForLR:13, barrierMfmaIndex:50, LocalWritePerMfma:0.210 */
/*  mfmaIndex:32  */
v_mfma_f32_32x32x8_bf16 a[0+0:15+0], v[vgprValuB_X2_I0+0+0+0:vgprValuB_X2_I0+0+0+0+1], v[vgprValuA_X2_I0+0+0+0:vgprValuA_X2_I0+0+0+0+1], a[0:15]
/*  mfmaIndex:33  */
v_mfma_f32_32x32x8_bf16 a[16+0:31+0], v[vgprValuB_X2_I0+0+0+0:vgprValuB_X2_I0+0+0+0+1], v[vgprValuA_X2_I0+4+0+0:vgprValuA_X2_I0+4+0+0+1], a[16:31]
/*  mfmaIndex:34  */
/* sched write - iter 2 writesPerItem=1 */
s_waitcnt vmcnt(0)                                 // lgkmcnt=-1 vmcnt=0wait for global read before writing to local
_ds_store_b128 v[vgprLocalWriteAddrB], v[vgprG2LB+0:vgprG2LB+0+3] offset:0 // lwoB_0_0_0_0 = (0*LSCB)*(MT1J+PAD) + (0*LSPB) = 0
v_mfma_f32_32x32x8_bf16 a[32+0:47+0], v[vgprValuB_X2_I0+0+0+0:vgprValuB_X2_I0+0+0+0+1], v[vgprValuA_X2_I0+8+0+0:vgprValuA_X2_I0+8+0+0+1], a[32:47]
/*  mfmaIndex:35  */
_buffer_load_b128 v[vgprG2LB+0:vgprG2LB+0+3], v[vgprGlobalReadOffsetB+0], s[sgprSrdB:sgprSrdB+3], 0, offen offset:0 // G -> Reg 0_0_0_0
v_mfma_f32_32x32x8_bf16 a[48+0:63+0], v[vgprValuB_X2_I0+0+0+0:vgprValuB_X2_I0+0+0+0+1], v[vgprValuA_X2_I0+12+0+0:vgprValuA_X2_I0+12+0+0+1], a[48:63]
/*  mfmaIndex:36  */
v_mfma_f32_32x32x8_bf16 a[112+0:127+0], v[vgprValuB_X2_I0+4+0+0:vgprValuB_X2_I0+4+0+0+1], v[vgprValuA_X2_I0+12+0+0:vgprValuA_X2_I0+12+0+0+1], a[112:127]
/*  mfmaIndex:37  */
v_mfma_f32_32x32x8_bf16 a[96+0:111+0], v[vgprValuB_X2_I0+4+0+0:vgprValuB_X2_I0+4+0+0+1], v[vgprValuA_X2_I0+8+0+0:vgprValuA_X2_I0+8+0+0+1], a[96:111]
/*  mfmaIndex:38  */
/* sched write - iter 2 writesPerItem=1 */
s_waitcnt vmcnt(0)                                 // lgkmcnt=-1 vmcnt=0wait for global read before writing to local
_ds_store_b128 v[vgprLocalWriteAddrB], v[vgprG2LB+4:vgprG2LB+4+3] offset:4608 // lwoB_0_0_1_0 = (0*LSCB)*(MT1J+PAD) + (1*LSPB) = 4608
v_mfma_f32_32x32x8_bf16 a[80+0:95+0], v[vgprValuB_X2_I0+4+0+0:vgprValuB_X2_I0+4+0+0+1], v[vgprValuA_X2_I0+4+0+0:vgprValuA_X2_I0+4+0+0+1], a[80:95]
/*  mfmaIndex:39  */
_buffer_load_b128 v[vgprG2LB+4:vgprG2LB+4+3], v[vgprGlobalReadOffsetB+0], s[sgprSrdB:sgprSrdB+3], s[sgprScalarGlobalReadOffsetB+0], offen offset:0 // G -> Reg 0_0_1_0
v_mfma_f32_32x32x8_bf16 a[64+0:79+0], v[vgprValuB_X2_I0+4+0+0:vgprValuB_X2_I0+4+0+0+1], v[vgprValuA_X2_I0+0+0+0:vgprValuA_X2_I0+0+0+0+1], a[64:79]
/*  mfmaIndex:40  */
v_mfma_f32_32x32x8_bf16 a[128+0:143+0], v[vgprValuB_X2_I0+8+0+0:vgprValuB_X2_I0+8+0+0+1], v[vgprValuA_X2_I0+0+0+0:vgprValuA_X2_I0+0+0+0+1], a[128:143]
/*  mfmaIndex:41  */
	;; [unrolled: 2-line block ×4, first 2 shown]
/* sched write - iter 2 writesPerItem=1 */
s_waitcnt vmcnt(0)                                 // lgkmcnt=-1 vmcnt=0wait for global read before writing to local
_ds_store_b128 v[vgprLocalWriteAddrB], v[vgprG2LB+8:vgprG2LB+8+3] offset:9216 // lwoB_0_0_2_0 = (0*LSCB)*(MT1J+PAD) + (2*LSPB) = 9216
v_mfma_f32_32x32x8_bf16 a[176+0:191+0], v[vgprValuB_X2_I0+8+0+0:vgprValuB_X2_I0+8+0+0+1], v[vgprValuA_X2_I0+12+0+0:vgprValuA_X2_I0+12+0+0+1], a[176:191]
/*  mfmaIndex:44  */
_buffer_load_b128 v[vgprG2LB+8:vgprG2LB+8+3], v[vgprGlobalReadOffsetB+0], s[sgprSrdB:sgprSrdB+3], s[sgprScalarGlobalReadOffsetB+1], offen offset:0 // G -> Reg 0_0_2_0
v_mfma_f32_32x32x8_bf16 a[240+0:255+0], v[vgprValuB_X2_I0+12+0+0:vgprValuB_X2_I0+12+0+0+1], v[vgprValuA_X2_I0+12+0+0:vgprValuA_X2_I0+12+0+0+1], a[240:255]
/*  mfmaIndex:45  */
v_mfma_f32_32x32x8_bf16 a[224+0:239+0], v[vgprValuB_X2_I0+12+0+0:vgprValuB_X2_I0+12+0+0+1], v[vgprValuA_X2_I0+8+0+0:vgprValuA_X2_I0+8+0+0+1], a[224:239]
/*  mfmaIndex:46  */
	;; [unrolled: 2-line block ×3, first 2 shown]

/* local read swap offsets a */

/* local read swap offsets b */

/* local read init pointers a */

/* localReadInitPointers */

/* local read init pointers b */

/* localReadInitPointers */
v_mfma_f32_32x32x8_bf16 a[192+0:207+0], v[vgprValuB_X2_I0+12+0+0:vgprValuB_X2_I0+12+0+0+1], v[vgprValuA_X2_I0+0+0+0:vgprValuA_X2_I0+0+0+0+1], a[192:207]


/* iter 3 (swap and reset local write pointers iteration)  */

/*  grEndMfmaIndex:6, lwStartMfmaIndex:15, lwEndMfmaIndex:49  */
/*  numMfmaForLR:13, barrierMfmaIndex:50, LocalWritePerMfma:0.210 */
/*  mfmaIndex:48  */
/* sched write - iter 3 writesPerItem=1 */
s_waitcnt vmcnt(0)                                 // lgkmcnt=-1 vmcnt=0wait for global read before writing to local
_ds_store_b128 v[vgprLocalWriteAddrB], v[vgprG2LB+12:vgprG2LB+12+3] offset:13824 // lwoB_0_0_3_0 = (0*LSCB)*(MT1J+PAD) + (3*LSPB) = 13824
v_mfma_f32_32x32x8_bf16 a[0+0:15+0], v[vgprValuB_X2_I0+0+2+0:vgprValuB_X2_I0+0+2+0+1], v[vgprValuA_X2_I0+0+2+0:vgprValuA_X2_I0+0+2+0+1], a[0:15]
/*  mfmaIndex:49  */
_buffer_load_b128 v[vgprG2LB+12:vgprG2LB+12+3], v[vgprGlobalReadOffsetB+0], s[sgprSrdB:sgprSrdB+3], s[sgprScalarGlobalReadOffsetB+2], offen offset:0 // G -> Reg 0_0_3_0

/* local write swap offsets a */

/* local write swap offsets b */
v_mfma_f32_32x32x8_bf16 a[16+0:31+0], v[vgprValuB_X2_I0+0+2+0:vgprValuB_X2_I0+0+2+0+1], v[vgprValuA_X2_I0+4+2+0:vgprValuA_X2_I0+4+2+0+1], a[16:31]
/*  mfmaIndex:50  */
s_waitcnt lgkmcnt(0)                               // lgkmcnt=0 vmcnt=-13wait for local write
// Skip force waitcnt0
s_barrier //
v_mfma_f32_32x32x8_bf16 a[32+0:47+0], v[vgprValuB_X2_I0+0+2+0:vgprValuB_X2_I0+0+2+0+1], v[vgprValuA_X2_I0+8+2+0:vgprValuA_X2_I0+8+2+0+1], a[32:47]
/*  mfmaIndex:51  */
_ds_load_b128 v[vgprValuA_X0_I0+0:vgprValuA_X0_I0+0+3], v[vgprLocalReadAddrA] offset:0 // L -> Reg lro=0 swapByteOffset=0 ti=128 vIdx=0 rIdx=0 oIdx=0 buffer=0 iui=0
v_mfma_f32_32x32x8_bf16 a[48+0:63+0], v[vgprValuB_X2_I0+0+2+0:vgprValuB_X2_I0+0+2+0+1], v[vgprValuA_X2_I0+12+2+0:vgprValuA_X2_I0+12+2+0+1], a[48:63]
/*  mfmaIndex:52  */
_ds_load_b128 v[vgprValuB_X0_I0+0:vgprValuB_X0_I0+0+3], v[vgprLocalReadAddrB] offset:0 // L -> Reg lro=0 swapByteOffset=0 ti=64 vIdx=0 rIdx=0 oIdx=0 buffer=0 iui=0
v_mfma_f32_32x32x8_bf16 a[112+0:127+0], v[vgprValuB_X2_I0+4+2+0:vgprValuB_X2_I0+4+2+0+1], v[vgprValuA_X2_I0+12+2+0:vgprValuA_X2_I0+12+2+0+1], a[112:127]
/*  mfmaIndex:53  */
_ds_load_b128 v[vgprValuA_X0_I0+4:vgprValuA_X0_I0+4+3], v[vgprLocalReadAddrA] offset:64 // L -> Reg lro=0 swapByteOffset=0 ti=128 vIdx=0 rIdx=0 oIdx=0 buffer=0 iui=0
v_mfma_f32_32x32x8_bf16 a[96+0:111+0], v[vgprValuB_X2_I0+4+2+0:vgprValuB_X2_I0+4+2+0+1], v[vgprValuA_X2_I0+8+2+0:vgprValuA_X2_I0+8+2+0+1], a[96:111]
/*  mfmaIndex:54  */
_ds_load_b128 v[vgprValuA_X0_I0+8:vgprValuA_X0_I0+8+3], v[vgprLocalReadAddrA] offset:9216 // L -> Reg lro=0 swapByteOffset=0 ti=128 vIdx=1 rIdx=0 oIdx=0 buffer=0 iui=0
	;; [unrolled: 3-line block ×3, first 2 shown]
v_mfma_f32_32x32x8_bf16 a[64+0:79+0], v[vgprValuB_X2_I0+4+2+0:vgprValuB_X2_I0+4+2+0+1], v[vgprValuA_X2_I0+0+2+0:vgprValuA_X2_I0+0+2+0+1], a[64:79]
/*  mfmaIndex:56  */
_ds_load_b128 v[vgprValuB_X0_I0+4:vgprValuB_X0_I0+4+3], v[vgprLocalReadAddrB] offset:4608 // L -> Reg lro=0 swapByteOffset=0 ti=64 vIdx=1 rIdx=0 oIdx=0 buffer=0 iui=0
v_mfma_f32_32x32x8_bf16 a[128+0:143+0], v[vgprValuB_X2_I0+8+2+0:vgprValuB_X2_I0+8+2+0+1], v[vgprValuA_X2_I0+0+2+0:vgprValuA_X2_I0+0+2+0+1], a[128:143]
/*  mfmaIndex:57  */
_ds_load_b128 v[vgprValuB_X0_I0+8:vgprValuB_X0_I0+8+3], v[vgprLocalReadAddrB] offset:9216 // L -> Reg lro=0 swapByteOffset=0 ti=64 vIdx=2 rIdx=0 oIdx=0 buffer=0 iui=0
	;; [unrolled: 3-line block ×3, first 2 shown]
v_mfma_f32_32x32x8_bf16 a[160+0:175+0], v[vgprValuB_X2_I0+8+2+0:vgprValuB_X2_I0+8+2+0+1], v[vgprValuA_X2_I0+8+2+0:vgprValuA_X2_I0+8+2+0+1], a[160:175]
/*  mfmaIndex:59  */
v_mfma_f32_32x32x8_bf16 a[176+0:191+0], v[vgprValuB_X2_I0+8+2+0:vgprValuB_X2_I0+8+2+0+1], v[vgprValuA_X2_I0+12+2+0:vgprValuA_X2_I0+12+2+0+1], a[176:191]
/*  mfmaIndex:60  */
v_mfma_f32_32x32x8_bf16 a[240+0:255+0], v[vgprValuB_X2_I0+12+2+0:vgprValuB_X2_I0+12+2+0+1], v[vgprValuA_X2_I0+12+2+0:vgprValuA_X2_I0+12+2+0+1], a[240:255]
/*  mfmaIndex:61  */
v_mfma_f32_32x32x8_bf16 a[224+0:239+0], v[vgprValuB_X2_I0+12+2+0:vgprValuB_X2_I0+12+2+0+1], v[vgprValuA_X2_I0+8+2+0:vgprValuA_X2_I0+8+2+0+1], a[224:239]
/*  mfmaIndex:62  */
v_mfma_f32_32x32x8_bf16 a[208+0:223+0], v[vgprValuB_X2_I0+12+2+0:vgprValuB_X2_I0+12+2+0+1], v[vgprValuA_X2_I0+4+2+0:vgprValuA_X2_I0+4+2+0+1], a[208:223]
/*  mfmaIndex:63  */
v_mfma_f32_32x32x8_bf16 a[192+0:207+0], v[vgprValuB_X2_I0+12+2+0:vgprValuB_X2_I0+12+2+0+1], v[vgprValuA_X2_I0+0+2+0:vgprValuA_X2_I0+0+2+0+1], a[192:207]


/******************************************/
/* Unrolled Loop - End 1/2                */
/******************************************/


/* closeLoop loopL finalLoop=0 tailLoop=0 */
s_sub_u32 s[sgprLoopCounterL], s[sgprLoopCounterL], 1 // dec counterL
s_cmp_eq_i32 s[sgprLoopCounterL], 0x2              // counterL==2
s_cbranch_scc1 LoopEndL_oddexit_3                  // exit LoopL


/******************************************/
/* Unrolled Loop 2/2 - Begin              */
/******************************************/

label_0016: // LoopCopy2 


/* Begin Each Unroll: Check VGPR.checkin for INT8 LW */



/* iter 0 */

/*  grEndMfmaIndex:6, lwStartMfmaIndex:15, lwEndMfmaIndex:49  */
/*  numMfmaForLR:13, barrierMfmaIndex:50, LocalWritePerMfma:0.210 */
/*  mfmaIndex:0  */
s_waitcnt lgkmcnt(0)                               // lgkmcnt=0 vmcnt=-1wait for prior local read local write old=0, new=0 newLW=0 newLR=0
v_mfma_f32_32x32x8_bf16 a[0+0:15+0], v[vgprValuB_X0_I0+0+0+0:vgprValuB_X0_I0+0+0+0+1], v[vgprValuA_X0_I0+0+0+0:vgprValuA_X0_I0+0+0+0+1], a[0:15]
/*  mfmaIndex:1  */
_ds_load_b128 v[vgprValuA_X2_I0+0:vgprValuA_X2_I0+0+3], v[vgprLocalReadAddrA] offset:32 // L -> Reg lro=16 swapByteOffset=0 ti=128 vIdx=0 rIdx=0 oIdx=0 buffer=2 iui=0

/* global read inc A loopL */
s_cmp_eq_u32 s[sgprLoopCounterL], s[sgprStaggerUIter] // Is this the wrapIter?
s_cselect_b32 s64, s[sgprWrapUA+0], s[sgprGlobalReadIncsA+0] // incLower <- ?
s_cselect_b32 s65, s[sgprWrapUA+1], 0              // incUpper <- ?
v_mfma_f32_32x32x8_bf16 a[16+0:31+0], v[vgprValuB_X0_I0+0+0+0:vgprValuB_X0_I0+0+0+0+1], v[vgprValuA_X0_I0+4+0+0:vgprValuA_X0_I0+4+0+0+1], a[16:31]
/*  mfmaIndex:2  */
_ds_load_b128 v[vgprValuB_X2_I0+0:vgprValuB_X2_I0+0+3], v[vgprLocalReadAddrB] offset:32 // L -> Reg lro=16 swapByteOffset=0 ti=64 vIdx=0 rIdx=0 oIdx=0 buffer=2 iui=0
s_add_u32 s[sgprSrdA+0], s[sgprSrdA+0], s64        // gra SRD += inc(lower)
s_addc_u32  s[sgprSrdA+1], s[sgprSrdA+1], s65      // gra SRD += inc(upper)
s_sub_u32 s[sgprShadowLimitA+0], s[sgprShadowLimitA+0], s64 // limit -= inc)
v_mfma_f32_32x32x8_bf16 a[32+0:47+0], v[vgprValuB_X0_I0+0+0+0:vgprValuB_X0_I0+0+0+0+1], v[vgprValuA_X0_I0+8+0+0:vgprValuA_X0_I0+8+0+0+1], a[32:47]
/*  mfmaIndex:3  */
_ds_load_b128 v[vgprValuA_X2_I0+4:vgprValuA_X2_I0+4+3], v[vgprLocalReadAddrA] offset:96 // L -> Reg lro=16 swapByteOffset=0 ti=128 vIdx=0 rIdx=0 oIdx=0 buffer=2 iui=0
s_subb_u32 s[sgprShadowLimitA+1], s[sgprShadowLimitA+1], s65 // limit -= inc)
s_cmp_eq_u32 s[sgprShadowLimitA+1], 0              // are we within 2^32?
s_cselect_b32 s[sgprSrdA+2], s[sgprShadowLimitA+0], BufferLimitA // Move shadow to real if we are within 2^32
v_mfma_f32_32x32x8_bf16 a[48+0:63+0], v[vgprValuB_X0_I0+0+0+0:vgprValuB_X0_I0+0+0+0+1], v[vgprValuA_X0_I0+12+0+0:vgprValuA_X0_I0+12+0+0+1], a[48:63]
/*  mfmaIndex:4  */
_ds_load_b128 v[vgprValuA_X2_I0+8:vgprValuA_X2_I0+8+3], v[vgprLocalReadAddrA] offset:9248 // L -> Reg lro=16 swapByteOffset=0 ti=128 vIdx=1 rIdx=0 oIdx=0 buffer=2 iui=0

/* global read inc B loopL */
s_cmp_eq_u32 s[sgprLoopCounterL], s[sgprStaggerUIter] // Is this the wrapIter?
s_cselect_b32 s64, s[sgprWrapUB+0], s[sgprGlobalReadIncsB+0] // incLower <- ?
s_cselect_b32 s65, s[sgprWrapUB+1], 0              // incUpper <- ?
v_mfma_f32_32x32x8_bf16 a[112+0:127+0], v[vgprValuB_X0_I0+4+0+0:vgprValuB_X0_I0+4+0+0+1], v[vgprValuA_X0_I0+12+0+0:vgprValuA_X0_I0+12+0+0+1], a[112:127]
/*  mfmaIndex:5  */
_ds_load_b128 v[vgprValuA_X2_I0+12:vgprValuA_X2_I0+12+3], v[vgprLocalReadAddrA] offset:9312 // L -> Reg lro=16 swapByteOffset=0 ti=128 vIdx=1 rIdx=0 oIdx=0 buffer=2 iui=0
s_add_u32 s[sgprSrdB+0], s[sgprSrdB+0], s64        // gra SRD += inc(lower)
s_addc_u32  s[sgprSrdB+1], s[sgprSrdB+1], s65      // gra SRD += inc(upper)
s_sub_u32 s[sgprShadowLimitB+0], s[sgprShadowLimitB+0], s64 // limit -= inc)
v_mfma_f32_32x32x8_bf16 a[96+0:111+0], v[vgprValuB_X0_I0+4+0+0:vgprValuB_X0_I0+4+0+0+1], v[vgprValuA_X0_I0+8+0+0:vgprValuA_X0_I0+8+0+0+1], a[96:111]
/*  mfmaIndex:6  */
_ds_load_b128 v[vgprValuB_X2_I0+4:vgprValuB_X2_I0+4+3], v[vgprLocalReadAddrB] offset:4640 // L -> Reg lro=16 swapByteOffset=0 ti=64 vIdx=1 rIdx=0 oIdx=0 buffer=2 iui=0
s_subb_u32 s[sgprShadowLimitB+1], s[sgprShadowLimitB+1], s65 // limit -= inc)
s_cmp_eq_u32 s[sgprShadowLimitB+1], 0              // are we within 2^32?
s_cselect_b32 s[sgprSrdB+2], s[sgprShadowLimitB+0], BufferLimitB // Move shadow to real if we are within 2^32
v_mfma_f32_32x32x8_bf16 a[80+0:95+0], v[vgprValuB_X0_I0+4+0+0:vgprValuB_X0_I0+4+0+0+1], v[vgprValuA_X0_I0+4+0+0:vgprValuA_X0_I0+4+0+0+1], a[80:95]
/*  mfmaIndex:7  */
_ds_load_b128 v[vgprValuB_X2_I0+8:vgprValuB_X2_I0+8+3], v[vgprLocalReadAddrB] offset:9248 // L -> Reg lro=16 swapByteOffset=0 ti=64 vIdx=2 rIdx=0 oIdx=0 buffer=2 iui=0
v_mfma_f32_32x32x8_bf16 a[64+0:79+0], v[vgprValuB_X0_I0+4+0+0:vgprValuB_X0_I0+4+0+0+1], v[vgprValuA_X0_I0+0+0+0:vgprValuA_X0_I0+0+0+0+1], a[64:79]
/*  mfmaIndex:8  */
_ds_load_b128 v[vgprValuB_X2_I0+12:vgprValuB_X2_I0+12+3], v[vgprLocalReadAddrB] offset:13856 // L -> Reg lro=16 swapByteOffset=0 ti=64 vIdx=3 rIdx=0 oIdx=0 buffer=2 iui=0
/* localReadsVacancy: latencyLeft 2 */
v_mfma_f32_32x32x8_bf16 a[128+0:143+0], v[vgprValuB_X0_I0+8+0+0:vgprValuB_X0_I0+8+0+0+1], v[vgprValuA_X0_I0+0+0+0:vgprValuA_X0_I0+0+0+0+1], a[128:143]
/*  mfmaIndex:9  */
/* localReadsVacancy: latencyLeft 6 */
v_mfma_f32_32x32x8_bf16 a[144+0:159+0], v[vgprValuB_X0_I0+8+0+0:vgprValuB_X0_I0+8+0+0+1], v[vgprValuA_X0_I0+4+0+0:vgprValuA_X0_I0+4+0+0+1], a[144:159]
/*  mfmaIndex:10  */
/* localReadsVacancy: latencyLeft 6 */
v_mfma_f32_32x32x8_bf16 a[160+0:175+0], v[vgprValuB_X0_I0+8+0+0:vgprValuB_X0_I0+8+0+0+1], v[vgprValuA_X0_I0+8+0+0:vgprValuA_X0_I0+8+0+0+1], a[160:175]
/*  mfmaIndex:11  */
/* localReadsVacancy: latencyLeft 6 */
v_mfma_f32_32x32x8_bf16 a[176+0:191+0], v[vgprValuB_X0_I0+8+0+0:vgprValuB_X0_I0+8+0+0+1], v[vgprValuA_X0_I0+12+0+0:vgprValuA_X0_I0+12+0+0+1], a[176:191]
/*  mfmaIndex:12  */
/* localReadsVacancy: latencyLeft 6 */
v_mfma_f32_32x32x8_bf16 a[240+0:255+0], v[vgprValuB_X0_I0+12+0+0:vgprValuB_X0_I0+12+0+0+1], v[vgprValuA_X0_I0+12+0+0:vgprValuA_X0_I0+12+0+0+1], a[240:255]
/*  mfmaIndex:13  */
/* localReadsVacancy: latencyLeft 6 */
v_mfma_f32_32x32x8_bf16 a[224+0:239+0], v[vgprValuB_X0_I0+12+0+0:vgprValuB_X0_I0+12+0+0+1], v[vgprValuA_X0_I0+8+0+0:vgprValuA_X0_I0+8+0+0+1], a[224:239]
/*  mfmaIndex:14  */
/* localReadsVacancy: latencyLeft 6 */
/* 1 LDS buffer: read-sync-write */
s_waitcnt lgkmcnt(0)                               // 
s_barrier                                          // 
v_mfma_f32_32x32x8_bf16 a[208+0:223+0], v[vgprValuB_X0_I0+12+0+0:vgprValuB_X0_I0+12+0+0+1], v[vgprValuA_X0_I0+4+0+0:vgprValuA_X0_I0+4+0+0+1], a[208:223]
/*  mfmaIndex:15  */
/* sched write - iter 0 writesPerItem=1 */
s_waitcnt vmcnt(0)                                 // lgkmcnt=-1 vmcnt=0wait for global read before writing to local
_ds_store_b128 v[vgprLocalWriteAddrA], v[vgprG2LA+0:vgprG2LA+0+3] offset:0 // lwoA_0_0_0_0 = (0*LSCA)*(MT0I+PAD) + (0*LSPA) = 0
v_mfma_f32_32x32x8_bf16 a[192+0:207+0], v[vgprValuB_X0_I0+12+0+0:vgprValuB_X0_I0+12+0+0+1], v[vgprValuA_X0_I0+0+0+0:vgprValuA_X0_I0+0+0+0+1], a[192:207]
/* numPrefetchIter=0 */
/* dataAtIterA=-1 numReadsIterA=1 skipReadsIterA=1 readsPerIterA=4 */
/* dataAtIterB=-1 numReadsIterB=1 skipReadsIterB=1 readsPerIterB=4 */


/* iter 1 */

/*  grEndMfmaIndex:6, lwStartMfmaIndex:15, lwEndMfmaIndex:49  */
/*  numMfmaForLR:13, barrierMfmaIndex:50, LocalWritePerMfma:0.210 */
/*  mfmaIndex:16  */
_buffer_load_b128 v[vgprG2LA+0:vgprG2LA+0+3], v[vgprGlobalReadOffsetA+0], s[sgprSrdA:sgprSrdA+3], 0, offen offset:0 // G -> Reg 0_0_0_0
v_mfma_f32_32x32x8_bf16 a[0+0:15+0], v[vgprValuB_X0_I0+0+2+0:vgprValuB_X0_I0+0+2+0+1], v[vgprValuA_X0_I0+0+2+0:vgprValuA_X0_I0+0+2+0+1], a[0:15]
/*  mfmaIndex:17  */
v_mfma_f32_32x32x8_bf16 a[16+0:31+0], v[vgprValuB_X0_I0+0+2+0:vgprValuB_X0_I0+0+2+0+1], v[vgprValuA_X0_I0+4+2+0:vgprValuA_X0_I0+4+2+0+1], a[16:31]
/*  mfmaIndex:18  */
	;; [unrolled: 2-line block ×3, first 2 shown]
/* sched write - iter 1 writesPerItem=1 */
s_waitcnt vmcnt(0)                                 // lgkmcnt=-1 vmcnt=0wait for global read before writing to local
_ds_store_b128 v[vgprLocalWriteAddrA], v[vgprG2LA+4:vgprG2LA+4+3] offset:1152 // lwoA_0_0_1_0 = (0*LSCA)*(MT0I+PAD) + (1*LSPA) = 1152
v_mfma_f32_32x32x8_bf16 a[48+0:63+0], v[vgprValuB_X0_I0+0+2+0:vgprValuB_X0_I0+0+2+0+1], v[vgprValuA_X0_I0+12+2+0:vgprValuA_X0_I0+12+2+0+1], a[48:63]
/*  mfmaIndex:20  */
_buffer_load_b128 v[vgprG2LA+4:vgprG2LA+4+3], v[vgprGlobalReadOffsetA+0], s[sgprSrdA:sgprSrdA+3], s[sgprScalarGlobalReadOffsetA+0], offen offset:0 // G -> Reg 0_0_1_0
v_mfma_f32_32x32x8_bf16 a[112+0:127+0], v[vgprValuB_X0_I0+4+2+0:vgprValuB_X0_I0+4+2+0+1], v[vgprValuA_X0_I0+12+2+0:vgprValuA_X0_I0+12+2+0+1], a[112:127]
/*  mfmaIndex:21  */
v_mfma_f32_32x32x8_bf16 a[96+0:111+0], v[vgprValuB_X0_I0+4+2+0:vgprValuB_X0_I0+4+2+0+1], v[vgprValuA_X0_I0+8+2+0:vgprValuA_X0_I0+8+2+0+1], a[96:111]
/*  mfmaIndex:22  */
	;; [unrolled: 2-line block ×4, first 2 shown]
/* sched write - iter 1 writesPerItem=1 */
s_waitcnt vmcnt(0)                                 // lgkmcnt=-1 vmcnt=0wait for global read before writing to local
_ds_store_b128 v[vgprLocalWriteAddrA], v[vgprG2LA+8:vgprG2LA+8+3] offset:2304 // lwoA_0_0_2_0 = (0*LSCA)*(MT0I+PAD) + (2*LSPA) = 2304
v_mfma_f32_32x32x8_bf16 a[128+0:143+0], v[vgprValuB_X0_I0+8+2+0:vgprValuB_X0_I0+8+2+0+1], v[vgprValuA_X0_I0+0+2+0:vgprValuA_X0_I0+0+2+0+1], a[128:143]
/*  mfmaIndex:25  */
_buffer_load_b128 v[vgprG2LA+8:vgprG2LA+8+3], v[vgprGlobalReadOffsetA+0], s[sgprSrdA:sgprSrdA+3], s[sgprScalarGlobalReadOffsetA+1], offen offset:0 // G -> Reg 0_0_2_0
v_mfma_f32_32x32x8_bf16 a[144+0:159+0], v[vgprValuB_X0_I0+8+2+0:vgprValuB_X0_I0+8+2+0+1], v[vgprValuA_X0_I0+4+2+0:vgprValuA_X0_I0+4+2+0+1], a[144:159]
/*  mfmaIndex:26  */
v_mfma_f32_32x32x8_bf16 a[160+0:175+0], v[vgprValuB_X0_I0+8+2+0:vgprValuB_X0_I0+8+2+0+1], v[vgprValuA_X0_I0+8+2+0:vgprValuA_X0_I0+8+2+0+1], a[160:175]
/*  mfmaIndex:27  */
	;; [unrolled: 2-line block ×4, first 2 shown]
/* sched write - iter 1 writesPerItem=1 */
s_waitcnt vmcnt(0)                                 // lgkmcnt=-1 vmcnt=0wait for global read before writing to local
_ds_store_b128 v[vgprLocalWriteAddrA], v[vgprG2LA+12:vgprG2LA+12+3] offset:3456 // lwoA_0_0_3_0 = (0*LSCA)*(MT0I+PAD) + (3*LSPA) = 3456
v_mfma_f32_32x32x8_bf16 a[224+0:239+0], v[vgprValuB_X0_I0+12+2+0:vgprValuB_X0_I0+12+2+0+1], v[vgprValuA_X0_I0+8+2+0:vgprValuA_X0_I0+8+2+0+1], a[224:239]
/*  mfmaIndex:30  */
_buffer_load_b128 v[vgprG2LA+12:vgprG2LA+12+3], v[vgprGlobalReadOffsetA+0], s[sgprSrdA:sgprSrdA+3], s[sgprScalarGlobalReadOffsetA+2], offen offset:0 // G -> Reg 0_0_3_0
v_mfma_f32_32x32x8_bf16 a[208+0:223+0], v[vgprValuB_X0_I0+12+2+0:vgprValuB_X0_I0+12+2+0+1], v[vgprValuA_X0_I0+4+2+0:vgprValuA_X0_I0+4+2+0+1], a[208:223]
/*  mfmaIndex:31  */
v_mfma_f32_32x32x8_bf16 a[192+0:207+0], v[vgprValuB_X0_I0+12+2+0:vgprValuB_X0_I0+12+2+0+1], v[vgprValuA_X0_I0+0+2+0:vgprValuA_X0_I0+0+2+0+1], a[192:207]


/* iter 2 (reset local read pointers iteration)  (swap local read pointers iteration)  */

/*  grEndMfmaIndex:6, lwStartMfmaIndex:15, lwEndMfmaIndex:49  */
/*  numMfmaForLR:13, barrierMfmaIndex:50, LocalWritePerMfma:0.210 */
/*  mfmaIndex:32  */
v_mfma_f32_32x32x8_bf16 a[0+0:15+0], v[vgprValuB_X2_I0+0+0+0:vgprValuB_X2_I0+0+0+0+1], v[vgprValuA_X2_I0+0+0+0:vgprValuA_X2_I0+0+0+0+1], a[0:15]
/*  mfmaIndex:33  */
v_mfma_f32_32x32x8_bf16 a[16+0:31+0], v[vgprValuB_X2_I0+0+0+0:vgprValuB_X2_I0+0+0+0+1], v[vgprValuA_X2_I0+4+0+0:vgprValuA_X2_I0+4+0+0+1], a[16:31]
/*  mfmaIndex:34  */
/* sched write - iter 2 writesPerItem=1 */
s_waitcnt vmcnt(0)                                 // lgkmcnt=-1 vmcnt=0wait for global read before writing to local
_ds_store_b128 v[vgprLocalWriteAddrB], v[vgprG2LB+0:vgprG2LB+0+3] offset:0 // lwoB_0_0_0_0 = (0*LSCB)*(MT1J+PAD) + (0*LSPB) = 0
v_mfma_f32_32x32x8_bf16 a[32+0:47+0], v[vgprValuB_X2_I0+0+0+0:vgprValuB_X2_I0+0+0+0+1], v[vgprValuA_X2_I0+8+0+0:vgprValuA_X2_I0+8+0+0+1], a[32:47]
/*  mfmaIndex:35  */
_buffer_load_b128 v[vgprG2LB+0:vgprG2LB+0+3], v[vgprGlobalReadOffsetB+0], s[sgprSrdB:sgprSrdB+3], 0, offen offset:0 // G -> Reg 0_0_0_0
v_mfma_f32_32x32x8_bf16 a[48+0:63+0], v[vgprValuB_X2_I0+0+0+0:vgprValuB_X2_I0+0+0+0+1], v[vgprValuA_X2_I0+12+0+0:vgprValuA_X2_I0+12+0+0+1], a[48:63]
/*  mfmaIndex:36  */
v_mfma_f32_32x32x8_bf16 a[112+0:127+0], v[vgprValuB_X2_I0+4+0+0:vgprValuB_X2_I0+4+0+0+1], v[vgprValuA_X2_I0+12+0+0:vgprValuA_X2_I0+12+0+0+1], a[112:127]
/*  mfmaIndex:37  */
v_mfma_f32_32x32x8_bf16 a[96+0:111+0], v[vgprValuB_X2_I0+4+0+0:vgprValuB_X2_I0+4+0+0+1], v[vgprValuA_X2_I0+8+0+0:vgprValuA_X2_I0+8+0+0+1], a[96:111]
/*  mfmaIndex:38  */
/* sched write - iter 2 writesPerItem=1 */
s_waitcnt vmcnt(0)                                 // lgkmcnt=-1 vmcnt=0wait for global read before writing to local
_ds_store_b128 v[vgprLocalWriteAddrB], v[vgprG2LB+4:vgprG2LB+4+3] offset:4608 // lwoB_0_0_1_0 = (0*LSCB)*(MT1J+PAD) + (1*LSPB) = 4608
v_mfma_f32_32x32x8_bf16 a[80+0:95+0], v[vgprValuB_X2_I0+4+0+0:vgprValuB_X2_I0+4+0+0+1], v[vgprValuA_X2_I0+4+0+0:vgprValuA_X2_I0+4+0+0+1], a[80:95]
/*  mfmaIndex:39  */
_buffer_load_b128 v[vgprG2LB+4:vgprG2LB+4+3], v[vgprGlobalReadOffsetB+0], s[sgprSrdB:sgprSrdB+3], s[sgprScalarGlobalReadOffsetB+0], offen offset:0 // G -> Reg 0_0_1_0
v_mfma_f32_32x32x8_bf16 a[64+0:79+0], v[vgprValuB_X2_I0+4+0+0:vgprValuB_X2_I0+4+0+0+1], v[vgprValuA_X2_I0+0+0+0:vgprValuA_X2_I0+0+0+0+1], a[64:79]
/*  mfmaIndex:40  */
v_mfma_f32_32x32x8_bf16 a[128+0:143+0], v[vgprValuB_X2_I0+8+0+0:vgprValuB_X2_I0+8+0+0+1], v[vgprValuA_X2_I0+0+0+0:vgprValuA_X2_I0+0+0+0+1], a[128:143]
/*  mfmaIndex:41  */
	;; [unrolled: 2-line block ×4, first 2 shown]
/* sched write - iter 2 writesPerItem=1 */
s_waitcnt vmcnt(0)                                 // lgkmcnt=-1 vmcnt=0wait for global read before writing to local
_ds_store_b128 v[vgprLocalWriteAddrB], v[vgprG2LB+8:vgprG2LB+8+3] offset:9216 // lwoB_0_0_2_0 = (0*LSCB)*(MT1J+PAD) + (2*LSPB) = 9216
v_mfma_f32_32x32x8_bf16 a[176+0:191+0], v[vgprValuB_X2_I0+8+0+0:vgprValuB_X2_I0+8+0+0+1], v[vgprValuA_X2_I0+12+0+0:vgprValuA_X2_I0+12+0+0+1], a[176:191]
/*  mfmaIndex:44  */
_buffer_load_b128 v[vgprG2LB+8:vgprG2LB+8+3], v[vgprGlobalReadOffsetB+0], s[sgprSrdB:sgprSrdB+3], s[sgprScalarGlobalReadOffsetB+1], offen offset:0 // G -> Reg 0_0_2_0
v_mfma_f32_32x32x8_bf16 a[240+0:255+0], v[vgprValuB_X2_I0+12+0+0:vgprValuB_X2_I0+12+0+0+1], v[vgprValuA_X2_I0+12+0+0:vgprValuA_X2_I0+12+0+0+1], a[240:255]
/*  mfmaIndex:45  */
v_mfma_f32_32x32x8_bf16 a[224+0:239+0], v[vgprValuB_X2_I0+12+0+0:vgprValuB_X2_I0+12+0+0+1], v[vgprValuA_X2_I0+8+0+0:vgprValuA_X2_I0+8+0+0+1], a[224:239]
/*  mfmaIndex:46  */
	;; [unrolled: 2-line block ×3, first 2 shown]

/* local read swap offsets a */

/* local read swap offsets b */

/* local read init pointers a */

/* localReadInitPointers */

/* local read init pointers b */

/* localReadInitPointers */
v_mfma_f32_32x32x8_bf16 a[192+0:207+0], v[vgprValuB_X2_I0+12+0+0:vgprValuB_X2_I0+12+0+0+1], v[vgprValuA_X2_I0+0+0+0:vgprValuA_X2_I0+0+0+0+1], a[192:207]


/* iter 3 (swap and reset local write pointers iteration)  */

/*  grEndMfmaIndex:6, lwStartMfmaIndex:15, lwEndMfmaIndex:49  */
/*  numMfmaForLR:13, barrierMfmaIndex:50, LocalWritePerMfma:0.210 */
/*  mfmaIndex:48  */
/* sched write - iter 3 writesPerItem=1 */
s_waitcnt vmcnt(0)                                 // lgkmcnt=-1 vmcnt=0wait for global read before writing to local
_ds_store_b128 v[vgprLocalWriteAddrB], v[vgprG2LB+12:vgprG2LB+12+3] offset:13824 // lwoB_0_0_3_0 = (0*LSCB)*(MT1J+PAD) + (3*LSPB) = 13824
v_mfma_f32_32x32x8_bf16 a[0+0:15+0], v[vgprValuB_X2_I0+0+2+0:vgprValuB_X2_I0+0+2+0+1], v[vgprValuA_X2_I0+0+2+0:vgprValuA_X2_I0+0+2+0+1], a[0:15]
/*  mfmaIndex:49  */
_buffer_load_b128 v[vgprG2LB+12:vgprG2LB+12+3], v[vgprGlobalReadOffsetB+0], s[sgprSrdB:sgprSrdB+3], s[sgprScalarGlobalReadOffsetB+2], offen offset:0 // G -> Reg 0_0_3_0

/* local write swap offsets a */

/* local write swap offsets b */
v_mfma_f32_32x32x8_bf16 a[16+0:31+0], v[vgprValuB_X2_I0+0+2+0:vgprValuB_X2_I0+0+2+0+1], v[vgprValuA_X2_I0+4+2+0:vgprValuA_X2_I0+4+2+0+1], a[16:31]
/*  mfmaIndex:50  */
s_waitcnt lgkmcnt(0)                               // lgkmcnt=0 vmcnt=-13wait for local write
// Skip force waitcnt0
s_barrier //
v_mfma_f32_32x32x8_bf16 a[32+0:47+0], v[vgprValuB_X2_I0+0+2+0:vgprValuB_X2_I0+0+2+0+1], v[vgprValuA_X2_I0+8+2+0:vgprValuA_X2_I0+8+2+0+1], a[32:47]
/*  mfmaIndex:51  */
_ds_load_b128 v[vgprValuA_X0_I0+0:vgprValuA_X0_I0+0+3], v[vgprLocalReadAddrA] offset:0 // L -> Reg lro=0 swapByteOffset=0 ti=128 vIdx=0 rIdx=0 oIdx=0 buffer=0 iui=0
v_mfma_f32_32x32x8_bf16 a[48+0:63+0], v[vgprValuB_X2_I0+0+2+0:vgprValuB_X2_I0+0+2+0+1], v[vgprValuA_X2_I0+12+2+0:vgprValuA_X2_I0+12+2+0+1], a[48:63]
/*  mfmaIndex:52  */
_ds_load_b128 v[vgprValuB_X0_I0+0:vgprValuB_X0_I0+0+3], v[vgprLocalReadAddrB] offset:0 // L -> Reg lro=0 swapByteOffset=0 ti=64 vIdx=0 rIdx=0 oIdx=0 buffer=0 iui=0
v_mfma_f32_32x32x8_bf16 a[112+0:127+0], v[vgprValuB_X2_I0+4+2+0:vgprValuB_X2_I0+4+2+0+1], v[vgprValuA_X2_I0+12+2+0:vgprValuA_X2_I0+12+2+0+1], a[112:127]
/*  mfmaIndex:53  */
_ds_load_b128 v[vgprValuA_X0_I0+4:vgprValuA_X0_I0+4+3], v[vgprLocalReadAddrA] offset:64 // L -> Reg lro=0 swapByteOffset=0 ti=128 vIdx=0 rIdx=0 oIdx=0 buffer=0 iui=0
v_mfma_f32_32x32x8_bf16 a[96+0:111+0], v[vgprValuB_X2_I0+4+2+0:vgprValuB_X2_I0+4+2+0+1], v[vgprValuA_X2_I0+8+2+0:vgprValuA_X2_I0+8+2+0+1], a[96:111]
/*  mfmaIndex:54  */
_ds_load_b128 v[vgprValuA_X0_I0+8:vgprValuA_X0_I0+8+3], v[vgprLocalReadAddrA] offset:9216 // L -> Reg lro=0 swapByteOffset=0 ti=128 vIdx=1 rIdx=0 oIdx=0 buffer=0 iui=0
	;; [unrolled: 3-line block ×3, first 2 shown]
v_mfma_f32_32x32x8_bf16 a[64+0:79+0], v[vgprValuB_X2_I0+4+2+0:vgprValuB_X2_I0+4+2+0+1], v[vgprValuA_X2_I0+0+2+0:vgprValuA_X2_I0+0+2+0+1], a[64:79]
/*  mfmaIndex:56  */
_ds_load_b128 v[vgprValuB_X0_I0+4:vgprValuB_X0_I0+4+3], v[vgprLocalReadAddrB] offset:4608 // L -> Reg lro=0 swapByteOffset=0 ti=64 vIdx=1 rIdx=0 oIdx=0 buffer=0 iui=0
v_mfma_f32_32x32x8_bf16 a[128+0:143+0], v[vgprValuB_X2_I0+8+2+0:vgprValuB_X2_I0+8+2+0+1], v[vgprValuA_X2_I0+0+2+0:vgprValuA_X2_I0+0+2+0+1], a[128:143]
/*  mfmaIndex:57  */
_ds_load_b128 v[vgprValuB_X0_I0+8:vgprValuB_X0_I0+8+3], v[vgprLocalReadAddrB] offset:9216 // L -> Reg lro=0 swapByteOffset=0 ti=64 vIdx=2 rIdx=0 oIdx=0 buffer=0 iui=0
	;; [unrolled: 3-line block ×3, first 2 shown]
v_mfma_f32_32x32x8_bf16 a[160+0:175+0], v[vgprValuB_X2_I0+8+2+0:vgprValuB_X2_I0+8+2+0+1], v[vgprValuA_X2_I0+8+2+0:vgprValuA_X2_I0+8+2+0+1], a[160:175]
/*  mfmaIndex:59  */
v_mfma_f32_32x32x8_bf16 a[176+0:191+0], v[vgprValuB_X2_I0+8+2+0:vgprValuB_X2_I0+8+2+0+1], v[vgprValuA_X2_I0+12+2+0:vgprValuA_X2_I0+12+2+0+1], a[176:191]
/*  mfmaIndex:60  */
v_mfma_f32_32x32x8_bf16 a[240+0:255+0], v[vgprValuB_X2_I0+12+2+0:vgprValuB_X2_I0+12+2+0+1], v[vgprValuA_X2_I0+12+2+0:vgprValuA_X2_I0+12+2+0+1], a[240:255]
/*  mfmaIndex:61  */
v_mfma_f32_32x32x8_bf16 a[224+0:239+0], v[vgprValuB_X2_I0+12+2+0:vgprValuB_X2_I0+12+2+0+1], v[vgprValuA_X2_I0+8+2+0:vgprValuA_X2_I0+8+2+0+1], a[224:239]
/*  mfmaIndex:62  */
v_mfma_f32_32x32x8_bf16 a[208+0:223+0], v[vgprValuB_X2_I0+12+2+0:vgprValuB_X2_I0+12+2+0+1], v[vgprValuA_X2_I0+4+2+0:vgprValuA_X2_I0+4+2+0+1], a[208:223]
/*  mfmaIndex:63  */
v_mfma_f32_32x32x8_bf16 a[192+0:207+0], v[vgprValuB_X2_I0+12+2+0:vgprValuB_X2_I0+12+2+0+1], v[vgprValuA_X2_I0+0+2+0:vgprValuA_X2_I0+0+2+0+1], a[192:207]


/******************************************/
/* Unrolled Loop - End 2/2 (final)        */
/******************************************/


/* closeLoop loopL finalLoop=1 tailLoop=0 */
s_sub_u32 s[sgprLoopCounterL], s[sgprLoopCounterL], 1 // dec counterL
s_cmp_eq_i32 s[sgprLoopCounterL], 0x2              // counterL==2
s_cbranch_scc0 LoopBeginL_1                        // restart LoopL
LoopEndL_evenexit_4: // unroll loop eveniter exit
s_branch LoopEndL_2                                // exit unroll loopL (and skip second exit code)
LoopEndL_oddexit_3: // unroll loop odditer exit

/* Select high bank of LDS */
LoopEndL_2:


/* Before NLL: Check VGPR.checkin for INT8 LW */


/******************************************/
/* Ord. NoGlobalLoadLoop - Begin                                      */
/******************************************/


	;; [unrolled: 1-line block ×3, first 2 shown]
/* iter 0 */

/*  grEndMfmaIndex:6, lwStartMfmaIndex:15, lwEndMfmaIndex:49  */
/*  numMfmaForLR:13, barrierMfmaIndex:50, LocalWritePerMfma:0.210 */
/*  mfmaIndex:0  */
s_waitcnt lgkmcnt(0)                               // lgkmcnt=0 vmcnt=-1wait for prior local read local write old=0, new=0 newLW=0 newLR=0
v_mfma_f32_32x32x8_bf16 a[0+0:15+0], v[vgprValuB_X0_I0+0+0+0:vgprValuB_X0_I0+0+0+0+1], v[vgprValuA_X0_I0+0+0+0:vgprValuA_X0_I0+0+0+0+1], a[0:15]
/*  mfmaIndex:1  */
_ds_load_b128 v[vgprValuA_X2_I0+0:vgprValuA_X2_I0+0+3], v[vgprLocalReadAddrA] offset:32 // L -> Reg lro=16 swapByteOffset=0 ti=128 vIdx=0 rIdx=0 oIdx=0 buffer=2 iui=0

/* global read inc A loopL */
s_cmp_eq_u32 s[sgprLoopCounterL], s[sgprStaggerUIter] // Is this the wrapIter?
s_cselect_b32 s64, s[sgprWrapUA+0], s[sgprGlobalReadIncsA+0] // incLower <- ?
s_cselect_b32 s65, s[sgprWrapUA+1], 0              // incUpper <- ?
v_mfma_f32_32x32x8_bf16 a[16+0:31+0], v[vgprValuB_X0_I0+0+0+0:vgprValuB_X0_I0+0+0+0+1], v[vgprValuA_X0_I0+4+0+0:vgprValuA_X0_I0+4+0+0+1], a[16:31]
/*  mfmaIndex:2  */
_ds_load_b128 v[vgprValuB_X2_I0+0:vgprValuB_X2_I0+0+3], v[vgprLocalReadAddrB] offset:32 // L -> Reg lro=16 swapByteOffset=0 ti=64 vIdx=0 rIdx=0 oIdx=0 buffer=2 iui=0
s_add_u32 s[sgprSrdA+0], s[sgprSrdA+0], s64        // gra SRD += inc(lower)
s_addc_u32  s[sgprSrdA+1], s[sgprSrdA+1], s65      // gra SRD += inc(upper)
s_sub_u32 s[sgprShadowLimitA+0], s[sgprShadowLimitA+0], s64 // limit -= inc)
v_mfma_f32_32x32x8_bf16 a[32+0:47+0], v[vgprValuB_X0_I0+0+0+0:vgprValuB_X0_I0+0+0+0+1], v[vgprValuA_X0_I0+8+0+0:vgprValuA_X0_I0+8+0+0+1], a[32:47]
/*  mfmaIndex:3  */
_ds_load_b128 v[vgprValuA_X2_I0+4:vgprValuA_X2_I0+4+3], v[vgprLocalReadAddrA] offset:96 // L -> Reg lro=16 swapByteOffset=0 ti=128 vIdx=0 rIdx=0 oIdx=0 buffer=2 iui=0
s_subb_u32 s[sgprShadowLimitA+1], s[sgprShadowLimitA+1], s65 // limit -= inc)
s_cmp_eq_u32 s[sgprShadowLimitA+1], 0              // are we within 2^32?
s_cselect_b32 s[sgprSrdA+2], s[sgprShadowLimitA+0], BufferLimitA // Move shadow to real if we are within 2^32
v_mfma_f32_32x32x8_bf16 a[48+0:63+0], v[vgprValuB_X0_I0+0+0+0:vgprValuB_X0_I0+0+0+0+1], v[vgprValuA_X0_I0+12+0+0:vgprValuA_X0_I0+12+0+0+1], a[48:63]
/*  mfmaIndex:4  */
_ds_load_b128 v[vgprValuA_X2_I0+8:vgprValuA_X2_I0+8+3], v[vgprLocalReadAddrA] offset:9248 // L -> Reg lro=16 swapByteOffset=0 ti=128 vIdx=1 rIdx=0 oIdx=0 buffer=2 iui=0

/* global read inc B loopL */
s_cmp_eq_u32 s[sgprLoopCounterL], s[sgprStaggerUIter] // Is this the wrapIter?
s_cselect_b32 s64, s[sgprWrapUB+0], s[sgprGlobalReadIncsB+0] // incLower <- ?
s_cselect_b32 s65, s[sgprWrapUB+1], 0              // incUpper <- ?
v_mfma_f32_32x32x8_bf16 a[112+0:127+0], v[vgprValuB_X0_I0+4+0+0:vgprValuB_X0_I0+4+0+0+1], v[vgprValuA_X0_I0+12+0+0:vgprValuA_X0_I0+12+0+0+1], a[112:127]
/*  mfmaIndex:5  */
_ds_load_b128 v[vgprValuA_X2_I0+12:vgprValuA_X2_I0+12+3], v[vgprLocalReadAddrA] offset:9312 // L -> Reg lro=16 swapByteOffset=0 ti=128 vIdx=1 rIdx=0 oIdx=0 buffer=2 iui=0
s_add_u32 s[sgprSrdB+0], s[sgprSrdB+0], s64        // gra SRD += inc(lower)
s_addc_u32  s[sgprSrdB+1], s[sgprSrdB+1], s65      // gra SRD += inc(upper)
s_sub_u32 s[sgprShadowLimitB+0], s[sgprShadowLimitB+0], s64 // limit -= inc)
v_mfma_f32_32x32x8_bf16 a[96+0:111+0], v[vgprValuB_X0_I0+4+0+0:vgprValuB_X0_I0+4+0+0+1], v[vgprValuA_X0_I0+8+0+0:vgprValuA_X0_I0+8+0+0+1], a[96:111]
/*  mfmaIndex:6  */
_ds_load_b128 v[vgprValuB_X2_I0+4:vgprValuB_X2_I0+4+3], v[vgprLocalReadAddrB] offset:4640 // L -> Reg lro=16 swapByteOffset=0 ti=64 vIdx=1 rIdx=0 oIdx=0 buffer=2 iui=0
s_subb_u32 s[sgprShadowLimitB+1], s[sgprShadowLimitB+1], s65 // limit -= inc)
s_cmp_eq_u32 s[sgprShadowLimitB+1], 0              // are we within 2^32?
s_cselect_b32 s[sgprSrdB+2], s[sgprShadowLimitB+0], BufferLimitB // Move shadow to real if we are within 2^32
v_mfma_f32_32x32x8_bf16 a[80+0:95+0], v[vgprValuB_X0_I0+4+0+0:vgprValuB_X0_I0+4+0+0+1], v[vgprValuA_X0_I0+4+0+0:vgprValuA_X0_I0+4+0+0+1], a[80:95]
/*  mfmaIndex:7  */
_ds_load_b128 v[vgprValuB_X2_I0+8:vgprValuB_X2_I0+8+3], v[vgprLocalReadAddrB] offset:9248 // L -> Reg lro=16 swapByteOffset=0 ti=64 vIdx=2 rIdx=0 oIdx=0 buffer=2 iui=0
v_mfma_f32_32x32x8_bf16 a[64+0:79+0], v[vgprValuB_X0_I0+4+0+0:vgprValuB_X0_I0+4+0+0+1], v[vgprValuA_X0_I0+0+0+0:vgprValuA_X0_I0+0+0+0+1], a[64:79]
/*  mfmaIndex:8  */
_ds_load_b128 v[vgprValuB_X2_I0+12:vgprValuB_X2_I0+12+3], v[vgprLocalReadAddrB] offset:13856 // L -> Reg lro=16 swapByteOffset=0 ti=64 vIdx=3 rIdx=0 oIdx=0 buffer=2 iui=0
/* localReadsVacancy: latencyLeft 2 */
v_mfma_f32_32x32x8_bf16 a[128+0:143+0], v[vgprValuB_X0_I0+8+0+0:vgprValuB_X0_I0+8+0+0+1], v[vgprValuA_X0_I0+0+0+0:vgprValuA_X0_I0+0+0+0+1], a[128:143]
/*  mfmaIndex:9  */
/* localReadsVacancy: latencyLeft 6 */
v_mfma_f32_32x32x8_bf16 a[144+0:159+0], v[vgprValuB_X0_I0+8+0+0:vgprValuB_X0_I0+8+0+0+1], v[vgprValuA_X0_I0+4+0+0:vgprValuA_X0_I0+4+0+0+1], a[144:159]
/*  mfmaIndex:10  */
	;; [unrolled: 3-line block ×6, first 2 shown]
/* localReadsVacancy: latencyLeft 6 */
/* 1 LDS buffer: read-sync-write */
s_waitcnt lgkmcnt(0)                               // 
s_barrier                                          // 
v_mfma_f32_32x32x8_bf16 a[208+0:223+0], v[vgprValuB_X0_I0+12+0+0:vgprValuB_X0_I0+12+0+0+1], v[vgprValuA_X0_I0+4+0+0:vgprValuA_X0_I0+4+0+0+1], a[208:223]
/*  mfmaIndex:15  */
/* sched write - iter 0 writesPerItem=1 */
s_waitcnt vmcnt(0)                                 // lgkmcnt=-1 vmcnt=0wait for global read before writing to local
_ds_store_b128 v[vgprLocalWriteAddrA], v[vgprG2LA+0:vgprG2LA+0+3] offset:0 // lwoA_0_0_0_0 = (0*LSCA)*(MT0I+PAD) + (0*LSPA) = 0
v_mfma_f32_32x32x8_bf16 a[192+0:207+0], v[vgprValuB_X0_I0+12+0+0:vgprValuB_X0_I0+12+0+0+1], v[vgprValuA_X0_I0+0+0+0:vgprValuA_X0_I0+0+0+0+1], a[192:207]
/* numPrefetchIter=0 */
/* dataAtIterA=-1 numReadsIterA=1 skipReadsIterA=1 readsPerIterA=4 */
/* dataAtIterB=-1 numReadsIterB=1 skipReadsIterB=1 readsPerIterB=4 */


/* iter 1 */

/*  grEndMfmaIndex:6, lwStartMfmaIndex:15, lwEndMfmaIndex:49  */
/*  numMfmaForLR:13, barrierMfmaIndex:50, LocalWritePerMfma:0.210 */
/*  mfmaIndex:16  */
v_mfma_f32_32x32x8_bf16 a[0+0:15+0], v[vgprValuB_X0_I0+0+2+0:vgprValuB_X0_I0+0+2+0+1], v[vgprValuA_X0_I0+0+2+0:vgprValuA_X0_I0+0+2+0+1], a[0:15]
/*  mfmaIndex:17  */
v_mfma_f32_32x32x8_bf16 a[16+0:31+0], v[vgprValuB_X0_I0+0+2+0:vgprValuB_X0_I0+0+2+0+1], v[vgprValuA_X0_I0+4+2+0:vgprValuA_X0_I0+4+2+0+1], a[16:31]
	;; [unrolled: 2-line block ×3, first 2 shown]
/*  mfmaIndex:19  */
/* sched write - iter 1 writesPerItem=1 */
s_waitcnt vmcnt(0)                                 // lgkmcnt=-1 vmcnt=0wait for global read before writing to local
_ds_store_b128 v[vgprLocalWriteAddrA], v[vgprG2LA+4:vgprG2LA+4+3] offset:1152 // lwoA_0_0_1_0 = (0*LSCA)*(MT0I+PAD) + (1*LSPA) = 1152
v_mfma_f32_32x32x8_bf16 a[48+0:63+0], v[vgprValuB_X0_I0+0+2+0:vgprValuB_X0_I0+0+2+0+1], v[vgprValuA_X0_I0+12+2+0:vgprValuA_X0_I0+12+2+0+1], a[48:63]
/*  mfmaIndex:20  */
v_mfma_f32_32x32x8_bf16 a[112+0:127+0], v[vgprValuB_X0_I0+4+2+0:vgprValuB_X0_I0+4+2+0+1], v[vgprValuA_X0_I0+12+2+0:vgprValuA_X0_I0+12+2+0+1], a[112:127]
/*  mfmaIndex:21  */
	;; [unrolled: 2-line block ×5, first 2 shown]
/* sched write - iter 1 writesPerItem=1 */
s_waitcnt vmcnt(0)                                 // lgkmcnt=-1 vmcnt=0wait for global read before writing to local
_ds_store_b128 v[vgprLocalWriteAddrA], v[vgprG2LA+8:vgprG2LA+8+3] offset:2304 // lwoA_0_0_2_0 = (0*LSCA)*(MT0I+PAD) + (2*LSPA) = 2304
v_mfma_f32_32x32x8_bf16 a[128+0:143+0], v[vgprValuB_X0_I0+8+2+0:vgprValuB_X0_I0+8+2+0+1], v[vgprValuA_X0_I0+0+2+0:vgprValuA_X0_I0+0+2+0+1], a[128:143]
/*  mfmaIndex:25  */
v_mfma_f32_32x32x8_bf16 a[144+0:159+0], v[vgprValuB_X0_I0+8+2+0:vgprValuB_X0_I0+8+2+0+1], v[vgprValuA_X0_I0+4+2+0:vgprValuA_X0_I0+4+2+0+1], a[144:159]
/*  mfmaIndex:26  */
	;; [unrolled: 2-line block ×5, first 2 shown]
/* sched write - iter 1 writesPerItem=1 */
s_waitcnt vmcnt(0)                                 // lgkmcnt=-1 vmcnt=0wait for global read before writing to local
_ds_store_b128 v[vgprLocalWriteAddrA], v[vgprG2LA+12:vgprG2LA+12+3] offset:3456 // lwoA_0_0_3_0 = (0*LSCA)*(MT0I+PAD) + (3*LSPA) = 3456
v_mfma_f32_32x32x8_bf16 a[224+0:239+0], v[vgprValuB_X0_I0+12+2+0:vgprValuB_X0_I0+12+2+0+1], v[vgprValuA_X0_I0+8+2+0:vgprValuA_X0_I0+8+2+0+1], a[224:239]
/*  mfmaIndex:30  */
v_mfma_f32_32x32x8_bf16 a[208+0:223+0], v[vgprValuB_X0_I0+12+2+0:vgprValuB_X0_I0+12+2+0+1], v[vgprValuA_X0_I0+4+2+0:vgprValuA_X0_I0+4+2+0+1], a[208:223]
/*  mfmaIndex:31  */
v_mfma_f32_32x32x8_bf16 a[192+0:207+0], v[vgprValuB_X0_I0+12+2+0:vgprValuB_X0_I0+12+2+0+1], v[vgprValuA_X0_I0+0+2+0:vgprValuA_X0_I0+0+2+0+1], a[192:207]


/* iter 2 (reset local read pointers iteration)  (swap local read pointers iteration)  */

/*  grEndMfmaIndex:6, lwStartMfmaIndex:15, lwEndMfmaIndex:49  */
/*  numMfmaForLR:13, barrierMfmaIndex:50, LocalWritePerMfma:0.210 */
/*  mfmaIndex:32  */
v_mfma_f32_32x32x8_bf16 a[0+0:15+0], v[vgprValuB_X2_I0+0+0+0:vgprValuB_X2_I0+0+0+0+1], v[vgprValuA_X2_I0+0+0+0:vgprValuA_X2_I0+0+0+0+1], a[0:15]
/*  mfmaIndex:33  */
v_mfma_f32_32x32x8_bf16 a[16+0:31+0], v[vgprValuB_X2_I0+0+0+0:vgprValuB_X2_I0+0+0+0+1], v[vgprValuA_X2_I0+4+0+0:vgprValuA_X2_I0+4+0+0+1], a[16:31]
/*  mfmaIndex:34  */
/* sched write - iter 2 writesPerItem=1 */
s_waitcnt vmcnt(0)                                 // lgkmcnt=-1 vmcnt=0wait for global read before writing to local
_ds_store_b128 v[vgprLocalWriteAddrB], v[vgprG2LB+0:vgprG2LB+0+3] offset:0 // lwoB_0_0_0_0 = (0*LSCB)*(MT1J+PAD) + (0*LSPB) = 0
v_mfma_f32_32x32x8_bf16 a[32+0:47+0], v[vgprValuB_X2_I0+0+0+0:vgprValuB_X2_I0+0+0+0+1], v[vgprValuA_X2_I0+8+0+0:vgprValuA_X2_I0+8+0+0+1], a[32:47]
/*  mfmaIndex:35  */
v_mfma_f32_32x32x8_bf16 a[48+0:63+0], v[vgprValuB_X2_I0+0+0+0:vgprValuB_X2_I0+0+0+0+1], v[vgprValuA_X2_I0+12+0+0:vgprValuA_X2_I0+12+0+0+1], a[48:63]
/*  mfmaIndex:36  */
	;; [unrolled: 2-line block ×4, first 2 shown]
/* sched write - iter 2 writesPerItem=1 */
s_waitcnt vmcnt(0)                                 // lgkmcnt=-1 vmcnt=0wait for global read before writing to local
_ds_store_b128 v[vgprLocalWriteAddrB], v[vgprG2LB+4:vgprG2LB+4+3] offset:4608 // lwoB_0_0_1_0 = (0*LSCB)*(MT1J+PAD) + (1*LSPB) = 4608
v_mfma_f32_32x32x8_bf16 a[80+0:95+0], v[vgprValuB_X2_I0+4+0+0:vgprValuB_X2_I0+4+0+0+1], v[vgprValuA_X2_I0+4+0+0:vgprValuA_X2_I0+4+0+0+1], a[80:95]
/*  mfmaIndex:39  */
v_mfma_f32_32x32x8_bf16 a[64+0:79+0], v[vgprValuB_X2_I0+4+0+0:vgprValuB_X2_I0+4+0+0+1], v[vgprValuA_X2_I0+0+0+0:vgprValuA_X2_I0+0+0+0+1], a[64:79]
/*  mfmaIndex:40  */
	;; [unrolled: 2-line block ×5, first 2 shown]
/* sched write - iter 2 writesPerItem=1 */
s_waitcnt vmcnt(0)                                 // lgkmcnt=-1 vmcnt=0wait for global read before writing to local
_ds_store_b128 v[vgprLocalWriteAddrB], v[vgprG2LB+8:vgprG2LB+8+3] offset:9216 // lwoB_0_0_2_0 = (0*LSCB)*(MT1J+PAD) + (2*LSPB) = 9216
v_mfma_f32_32x32x8_bf16 a[176+0:191+0], v[vgprValuB_X2_I0+8+0+0:vgprValuB_X2_I0+8+0+0+1], v[vgprValuA_X2_I0+12+0+0:vgprValuA_X2_I0+12+0+0+1], a[176:191]
/*  mfmaIndex:44  */
v_mfma_f32_32x32x8_bf16 a[240+0:255+0], v[vgprValuB_X2_I0+12+0+0:vgprValuB_X2_I0+12+0+0+1], v[vgprValuA_X2_I0+12+0+0:vgprValuA_X2_I0+12+0+0+1], a[240:255]
/*  mfmaIndex:45  */
	;; [unrolled: 2-line block ×4, first 2 shown]

/* local read swap offsets a */

/* local read swap offsets b */

/* local read init pointers a */

/* localReadInitPointers */

/* local read init pointers b */

/* localReadInitPointers */
v_mfma_f32_32x32x8_bf16 a[192+0:207+0], v[vgprValuB_X2_I0+12+0+0:vgprValuB_X2_I0+12+0+0+1], v[vgprValuA_X2_I0+0+0+0:vgprValuA_X2_I0+0+0+0+1], a[192:207]


/* iter 3 (swap and reset local write pointers iteration)  */

/*  grEndMfmaIndex:6, lwStartMfmaIndex:15, lwEndMfmaIndex:49  */
/*  numMfmaForLR:13, barrierMfmaIndex:50, LocalWritePerMfma:0.210 */
/*  mfmaIndex:48  */
/* sched write - iter 3 writesPerItem=1 */
s_waitcnt vmcnt(0)                                 // lgkmcnt=-1 vmcnt=0wait for global read before writing to local
_ds_store_b128 v[vgprLocalWriteAddrB], v[vgprG2LB+12:vgprG2LB+12+3] offset:13824 // lwoB_0_0_3_0 = (0*LSCB)*(MT1J+PAD) + (3*LSPB) = 13824
v_mfma_f32_32x32x8_bf16 a[0+0:15+0], v[vgprValuB_X2_I0+0+2+0:vgprValuB_X2_I0+0+2+0+1], v[vgprValuA_X2_I0+0+2+0:vgprValuA_X2_I0+0+2+0+1], a[0:15]
/*  mfmaIndex:49  */

/* local write swap offsets a */

/* local write swap offsets b */
v_mfma_f32_32x32x8_bf16 a[16+0:31+0], v[vgprValuB_X2_I0+0+2+0:vgprValuB_X2_I0+0+2+0+1], v[vgprValuA_X2_I0+4+2+0:vgprValuA_X2_I0+4+2+0+1], a[16:31]
/*  mfmaIndex:50  */
s_waitcnt lgkmcnt(0)                               // lgkmcnt=0 vmcnt=-13wait for local write
// Skip force waitcnt0
s_barrier //
v_mfma_f32_32x32x8_bf16 a[32+0:47+0], v[vgprValuB_X2_I0+0+2+0:vgprValuB_X2_I0+0+2+0+1], v[vgprValuA_X2_I0+8+2+0:vgprValuA_X2_I0+8+2+0+1], a[32:47]
/*  mfmaIndex:51  */
_ds_load_b128 v[vgprValuA_X0_I0+0:vgprValuA_X0_I0+0+3], v[vgprLocalReadAddrA] offset:0 // L -> Reg lro=0 swapByteOffset=0 ti=128 vIdx=0 rIdx=0 oIdx=0 buffer=0 iui=0
v_mfma_f32_32x32x8_bf16 a[48+0:63+0], v[vgprValuB_X2_I0+0+2+0:vgprValuB_X2_I0+0+2+0+1], v[vgprValuA_X2_I0+12+2+0:vgprValuA_X2_I0+12+2+0+1], a[48:63]
/*  mfmaIndex:52  */
_ds_load_b128 v[vgprValuB_X0_I0+0:vgprValuB_X0_I0+0+3], v[vgprLocalReadAddrB] offset:0 // L -> Reg lro=0 swapByteOffset=0 ti=64 vIdx=0 rIdx=0 oIdx=0 buffer=0 iui=0
v_mfma_f32_32x32x8_bf16 a[112+0:127+0], v[vgprValuB_X2_I0+4+2+0:vgprValuB_X2_I0+4+2+0+1], v[vgprValuA_X2_I0+12+2+0:vgprValuA_X2_I0+12+2+0+1], a[112:127]
/*  mfmaIndex:53  */
_ds_load_b128 v[vgprValuA_X0_I0+4:vgprValuA_X0_I0+4+3], v[vgprLocalReadAddrA] offset:64 // L -> Reg lro=0 swapByteOffset=0 ti=128 vIdx=0 rIdx=0 oIdx=0 buffer=0 iui=0
v_mfma_f32_32x32x8_bf16 a[96+0:111+0], v[vgprValuB_X2_I0+4+2+0:vgprValuB_X2_I0+4+2+0+1], v[vgprValuA_X2_I0+8+2+0:vgprValuA_X2_I0+8+2+0+1], a[96:111]
/*  mfmaIndex:54  */
_ds_load_b128 v[vgprValuA_X0_I0+8:vgprValuA_X0_I0+8+3], v[vgprLocalReadAddrA] offset:9216 // L -> Reg lro=0 swapByteOffset=0 ti=128 vIdx=1 rIdx=0 oIdx=0 buffer=0 iui=0
	;; [unrolled: 3-line block ×3, first 2 shown]
v_mfma_f32_32x32x8_bf16 a[64+0:79+0], v[vgprValuB_X2_I0+4+2+0:vgprValuB_X2_I0+4+2+0+1], v[vgprValuA_X2_I0+0+2+0:vgprValuA_X2_I0+0+2+0+1], a[64:79]
/*  mfmaIndex:56  */
_ds_load_b128 v[vgprValuB_X0_I0+4:vgprValuB_X0_I0+4+3], v[vgprLocalReadAddrB] offset:4608 // L -> Reg lro=0 swapByteOffset=0 ti=64 vIdx=1 rIdx=0 oIdx=0 buffer=0 iui=0
v_mfma_f32_32x32x8_bf16 a[128+0:143+0], v[vgprValuB_X2_I0+8+2+0:vgprValuB_X2_I0+8+2+0+1], v[vgprValuA_X2_I0+0+2+0:vgprValuA_X2_I0+0+2+0+1], a[128:143]
/*  mfmaIndex:57  */
_ds_load_b128 v[vgprValuB_X0_I0+8:vgprValuB_X0_I0+8+3], v[vgprLocalReadAddrB] offset:9216 // L -> Reg lro=0 swapByteOffset=0 ti=64 vIdx=2 rIdx=0 oIdx=0 buffer=0 iui=0
	;; [unrolled: 3-line block ×3, first 2 shown]
v_mfma_f32_32x32x8_bf16 a[160+0:175+0], v[vgprValuB_X2_I0+8+2+0:vgprValuB_X2_I0+8+2+0+1], v[vgprValuA_X2_I0+8+2+0:vgprValuA_X2_I0+8+2+0+1], a[160:175]
/*  mfmaIndex:59  */
v_mfma_f32_32x32x8_bf16 a[176+0:191+0], v[vgprValuB_X2_I0+8+2+0:vgprValuB_X2_I0+8+2+0+1], v[vgprValuA_X2_I0+12+2+0:vgprValuA_X2_I0+12+2+0+1], a[176:191]
/*  mfmaIndex:60  */
	;; [unrolled: 2-line block ×5, first 2 shown]
v_mfma_f32_32x32x8_bf16 a[192+0:207+0], v[vgprValuB_X2_I0+12+2+0:vgprValuB_X2_I0+12+2+0+1], v[vgprValuA_X2_I0+0+2+0:vgprValuA_X2_I0+0+2+0+1], a[192:207]

label_0014:


/******************************************/
/* Opt. NoLoadLoop Without PAP - Begin                                      */
/******************************************/

s_cmpk_eq_u32 s[sgprBeta], 0x0                     // Beta == 0
s_cbranch_scc0 OptNLL_End_17                       // Branch if Beta is not zero

s_cmp_eq_u32 s[sgprAlpha], 1.0                     // Alpha == 1.0 ?
s_cbranch_scc0 OptNLL_End_17                       // branch if alpha != 1

s_and_b32 s64, 255, s[sgprSizeI]                   // s64 = s[sgprSizeI] % 256
s_add_u32 s65, -0x1, s[sgprNumWorkGroups0]         // 
s_cmp_ge_u32 s[sgprWorkGroup0], s65                // wg0 >= nwg0-1 ?
s_cselect_b32 s64, s64, 0                          // set rMT0
s_cmpk_gt_u32 s64, 0x0                             // rMT0 > 0
s_cbranch_scc1 OptNLL_End_17                       // jump if edges required
s_and_b32 s64, 255, s[sgprSizeJ]                   // s64 = s[sgprSizeJ] % 256
s_add_u32 s65, -0x1, s[sgprNumWorkGroups1]         // 
s_cmp_ge_u32 s[sgprWorkGroup1], s65                // wg1 >= nwg1-1
s_cselect_b32 s64, s64, 0                          // set rMT1
s_cmpk_gt_u32 s64, 0x0                             // rMT1 > 0
s_cbranch_scc1 OptNLL_End_17                       // jump if edges required

s_and_b32 s65, 31, s[sgprSizesSum+0]               // s65 = s[sgprSizesSum+0] % 32
s_cmp_eq_u32 s65, 0x0                              // numIterL == 0
s_cbranch_scc0 OptNLL_End_17                       // skip if tail loop required


	;; [unrolled: 1-line block ×3, first 2 shown]
/* iter 0 (last unrolled loop) */

/*  grEndMfmaIndex:0, lwStartMfmaIndex:49, lwEndMfmaIndex:49  */
/*  numMfmaForLR:13, barrierMfmaIndex:50, LocalWritePerMfma:0.210 */
/*  mfmaIndex:0  */
s_waitcnt lgkmcnt(0)                               // lgkmcnt=0 vmcnt=-1wait for prior local read local write old=0, new=0 newLW=0 newLR=0
v_mfma_f32_32x32x8_bf16 a[0+0:15+0], v[vgprValuB_X0_I0+0+0+0:vgprValuB_X0_I0+0+0+0+1], v[vgprValuA_X0_I0+0+0+0:vgprValuA_X0_I0+0+0+0+1], a[0:15]
/*  mfmaIndex:1  */
_ds_load_b128 v[vgprValuA_X2_I0+0:vgprValuA_X2_I0+0+3], v[vgprLocalReadAddrA] offset:32 // L -> Reg lro=16 swapByteOffset=0 ti=128 vIdx=0 rIdx=0 oIdx=0 buffer=2 iui=0
v_mfma_f32_32x32x8_bf16 a[16+0:31+0], v[vgprValuB_X0_I0+0+0+0:vgprValuB_X0_I0+0+0+0+1], v[vgprValuA_X0_I0+4+0+0:vgprValuA_X0_I0+4+0+0+1], a[16:31]
/*  mfmaIndex:2  */
_ds_load_b128 v[vgprValuB_X2_I0+0:vgprValuB_X2_I0+0+3], v[vgprLocalReadAddrB] offset:32 // L -> Reg lro=16 swapByteOffset=0 ti=64 vIdx=0 rIdx=0 oIdx=0 buffer=2 iui=0
v_mfma_f32_32x32x8_bf16 a[32+0:47+0], v[vgprValuB_X0_I0+0+0+0:vgprValuB_X0_I0+0+0+0+1], v[vgprValuA_X0_I0+8+0+0:vgprValuA_X0_I0+8+0+0+1], a[32:47]
/*  mfmaIndex:3  */
_ds_load_b128 v[vgprValuA_X2_I0+4:vgprValuA_X2_I0+4+3], v[vgprLocalReadAddrA] offset:96 // L -> Reg lro=16 swapByteOffset=0 ti=128 vIdx=0 rIdx=0 oIdx=0 buffer=2 iui=0
v_mfma_f32_32x32x8_bf16 a[48+0:63+0], v[vgprValuB_X0_I0+0+0+0:vgprValuB_X0_I0+0+0+0+1], v[vgprValuA_X0_I0+12+0+0:vgprValuA_X0_I0+12+0+0+1], a[48:63]
/*  mfmaIndex:4  */
_ds_load_b128 v[vgprValuA_X2_I0+8:vgprValuA_X2_I0+8+3], v[vgprLocalReadAddrA] offset:9248 // L -> Reg lro=16 swapByteOffset=0 ti=128 vIdx=1 rIdx=0 oIdx=0 buffer=2 iui=0
	;; [unrolled: 3-line block ×3, first 2 shown]
v_mfma_f32_32x32x8_bf16 a[96+0:111+0], v[vgprValuB_X0_I0+4+0+0:vgprValuB_X0_I0+4+0+0+1], v[vgprValuA_X0_I0+8+0+0:vgprValuA_X0_I0+8+0+0+1], a[96:111]
/*  mfmaIndex:6  */
_ds_load_b128 v[vgprValuB_X2_I0+4:vgprValuB_X2_I0+4+3], v[vgprLocalReadAddrB] offset:4640 // L -> Reg lro=16 swapByteOffset=0 ti=64 vIdx=1 rIdx=0 oIdx=0 buffer=2 iui=0
v_mfma_f32_32x32x8_bf16 a[80+0:95+0], v[vgprValuB_X0_I0+4+0+0:vgprValuB_X0_I0+4+0+0+1], v[vgprValuA_X0_I0+4+0+0:vgprValuA_X0_I0+4+0+0+1], a[80:95]
/*  mfmaIndex:7  */
_ds_load_b128 v[vgprValuB_X2_I0+8:vgprValuB_X2_I0+8+3], v[vgprLocalReadAddrB] offset:9248 // L -> Reg lro=16 swapByteOffset=0 ti=64 vIdx=2 rIdx=0 oIdx=0 buffer=2 iui=0
v_mfma_f32_32x32x8_bf16 a[64+0:79+0], v[vgprValuB_X0_I0+4+0+0:vgprValuB_X0_I0+4+0+0+1], v[vgprValuA_X0_I0+0+0+0:vgprValuA_X0_I0+0+0+0+1], a[64:79]
/*  mfmaIndex:8  */
_ds_load_b128 v[vgprValuB_X2_I0+12:vgprValuB_X2_I0+12+3], v[vgprLocalReadAddrB] offset:13856 // L -> Reg lro=16 swapByteOffset=0 ti=64 vIdx=3 rIdx=0 oIdx=0 buffer=2 iui=0
/* localReadsVacancy: latencyLeft 2 */
v_mfma_f32_32x32x8_bf16 a[128+0:143+0], v[vgprValuB_X0_I0+8+0+0:vgprValuB_X0_I0+8+0+0+1], v[vgprValuA_X0_I0+0+0+0:vgprValuA_X0_I0+0+0+0+1], a[128:143]
/*  mfmaIndex:9  */
/* localReadsVacancy: latencyLeft 6 */
v_mfma_f32_32x32x8_bf16 a[144+0:159+0], v[vgprValuB_X0_I0+8+0+0:vgprValuB_X0_I0+8+0+0+1], v[vgprValuA_X0_I0+4+0+0:vgprValuA_X0_I0+4+0+0+1], a[144:159]
/*  mfmaIndex:10  */
	;; [unrolled: 3-line block ×7, first 2 shown]
/* localReadsVacancy: latencyLeft 6 */
v_mfma_f32_32x32x8_bf16 a[192+0:207+0], v[vgprValuB_X0_I0+12+0+0:vgprValuB_X0_I0+12+0+0+1], v[vgprValuA_X0_I0+0+0+0:vgprValuA_X0_I0+0+0+0+1], a[192:207]
/* numPrefetchIter=0 */
/* dataAtIterA=-1 numReadsIterA=1 skipReadsIterA=1 readsPerIterA=4 */
/* dataAtIterB=-1 numReadsIterB=1 skipReadsIterB=1 readsPerIterB=4 */


/* iter 1 (last unrolled loop) */

/*  grEndMfmaIndex:0, lwStartMfmaIndex:49, lwEndMfmaIndex:49  */
/*  numMfmaForLR:13, barrierMfmaIndex:50, LocalWritePerMfma:0.210 */
/*  mfmaIndex:16  */
/* localReadsVacancy: latencyLeft 6 */
s_waitcnt lgkmcnt(8)                               // lgkmcnt=0 vmcnt=-1wait for prior local read local write old=0, new=8 newLW=0 newLR=8
v_mfma_f32_32x32x8_bf16 a[0+0:15+0], v[vgprValuB_X0_I0+0+2+0:vgprValuB_X0_I0+0+2+0+1], v[vgprValuA_X0_I0+0+2+0:vgprValuA_X0_I0+0+2+0+1], a[0:15]
/*  mfmaIndex:17  */
/* localReadsVacancy: latencyLeft 6 */
v_mfma_f32_32x32x8_bf16 a[16+0:31+0], v[vgprValuB_X0_I0+0+2+0:vgprValuB_X0_I0+0+2+0+1], v[vgprValuA_X0_I0+4+2+0:vgprValuA_X0_I0+4+2+0+1], a[16:31]
/*  mfmaIndex:18  */
/* localReadsVacancy: latencyLeft 6 */
	;; [unrolled: 3-line block ×15, first 2 shown]
v_mfma_f32_32x32x8_bf16 a[192+0:207+0], v[vgprValuB_X0_I0+12+2+0:vgprValuB_X0_I0+12+2+0+1], v[vgprValuA_X0_I0+0+2+0:vgprValuA_X0_I0+0+2+0+1], a[192:207]
/* numPrefetchIter=0 */
/* dataAtIterA=-1 numReadsIterA=1 skipReadsIterA=1 readsPerIterA=4 */
/* dataAtIterB=-1 numReadsIterB=1 skipReadsIterB=1 readsPerIterB=4 */


/* iter 2 (last unrolled loop) */

/*  grEndMfmaIndex:0, lwStartMfmaIndex:49, lwEndMfmaIndex:49  */
/*  numMfmaForLR:13, barrierMfmaIndex:50, LocalWritePerMfma:0.210 */
/*  mfmaIndex:32  */
/* localReadsVacancy: latencyLeft 6 */
s_waitcnt lgkmcnt(0)                               // lgkmcnt=0 vmcnt=-1wait for prior local read local write old=0, new=0 newLW=0 newLR=0
v_mfma_f32_32x32x8_bf16 a[0+0:15+0], v[vgprValuB_X2_I0+0+0+0:vgprValuB_X2_I0+0+0+0+1], v[vgprValuA_X2_I0+0+0+0:vgprValuA_X2_I0+0+0+0+1], a[0:15]
/*  mfmaIndex:33  */
/* localReadsVacancy: latencyLeft 6 */
v_mfma_f32_32x32x8_bf16 a[16+0:31+0], v[vgprValuB_X2_I0+0+0+0:vgprValuB_X2_I0+0+0+0+1], v[vgprValuA_X2_I0+4+0+0:vgprValuA_X2_I0+4+0+0+1], a[16:31]
/*  mfmaIndex:34  */
/* localReadsVacancy: latencyLeft 6 */
	;; [unrolled: 3-line block ×15, first 2 shown]
v_mfma_f32_32x32x8_bf16 a[192+0:207+0], v[vgprValuB_X2_I0+12+0+0:vgprValuB_X2_I0+12+0+0+1], v[vgprValuA_X2_I0+0+0+0:vgprValuA_X2_I0+0+0+0+1], a[192:207]
/* numPrefetchIter=0 */
/* dataAtIterA=0 numReadsIterA=1 skipReadsIterA=0 readsPerIterA=4 */
/* dataAtIterB=0 numReadsIterB=1 skipReadsIterB=0 readsPerIterB=4 */


/* iter 3 (last unrolled loop) */

/*  grEndMfmaIndex:0, lwStartMfmaIndex:49, lwEndMfmaIndex:49  */
/*  numMfmaForLR:13, barrierMfmaIndex:50, LocalWritePerMfma:0.210 */
/*  mfmaIndex:48  */
/* 1 LDS buffer: read-sync-write */
s_waitcnt lgkmcnt(0)                               // 
s_barrier                                          // 
s_waitcnt lgkmcnt(0)                               // lgkmcnt=0 vmcnt=-1wait for prior local read local write old=0, new=0 newLW=0 newLR=0
v_mfma_f32_32x32x8_bf16 a[0+0:15+0], v[vgprValuB_X2_I0+0+2+0:vgprValuB_X2_I0+0+2+0+1], v[vgprValuA_X2_I0+0+2+0:vgprValuA_X2_I0+0+2+0+1], a[0:15]
/*  mfmaIndex:49  */
v_mfma_f32_32x32x8_bf16 a[16+0:31+0], v[vgprValuB_X2_I0+0+2+0:vgprValuB_X2_I0+0+2+0+1], v[vgprValuA_X2_I0+4+2+0:vgprValuA_X2_I0+4+2+0+1], a[16:31]
/*  mfmaIndex:50  */
	;; [unrolled: 2-line block ×15, first 2 shown]
v_mfma_f32_32x32x8_bf16 a[192+0:207+0], v[vgprValuB_X2_I0+12+2+0:vgprValuB_X2_I0+12+2+0+1], v[vgprValuA_X2_I0+0+2+0:vgprValuA_X2_I0+0+2+0+1], a[192:207]
/* numPrefetchIter=0 */
/* dataAtIterA=0 numReadsIterA=1 skipReadsIterA=0 readsPerIterA=4 */
/* dataAtIterB=0 numReadsIterB=1 skipReadsIterB=0 readsPerIterB=4 */

/* Stores for OptNLL */
Summation_End_OptNLL_18:
/* endSummation: add vgpr [0...100) to pool */
.set NumFullBlocks, UNDEF
.set WgmRemainder1, UNDEF
.set MagicNumberWgmRemainder1, UNDEF
.set ScalarGlobalReadOffsetA, UNDEF
.set ScalarGlobalReadOffsetB, UNDEF

/* Mapping of Acc register -> C Vgpr register */
/* computeStoreVgprs */
v_lshrrev_b32 v4, 6, v[vgprSerial]                 // v4 = v[vgprSerial] / 64
v_and_b32 v1, 63, v[vgprSerial]                    // v1 = v[vgprSerial] % 64
v_lshrrev_b32 v1, 5, v1                            // v1 = v1 / 32
v_lshlrev_b32 v1, 0x2, v1                          // thread0 * continuous_output
v_lshrrev_b32 v5, 1, v4                            // v5 = v4 / 2
v_mul_lo_u32 v5, 0x20, v5                          // wave coordination offset 1
_v_add_lshl_u32 v1, v5, v1, 0                      // coordination 1 = vwb *(wave_id1 + tid1)
v_mul_lo_u32 v2, v1, s[sgprStrideC1J]              //  offset 1
v_mul_lo_u32 v3, v1, s[sgprStrideD1J]              //  offset 1
v_and_b32 v5, 1, v4                                // v5 = v4 % 2
v_mul_lo_u32 v5, 0x20, v5                          // wave coordination offset 0
v_and_b32 v0, 31, v[vgprSerial]                    // v0 = v[vgprSerial] % 32
_v_add_lshl_u32 v0, v5, v0, 1                      // coordination 0 = vwa *(wave_id0 + tid0)
s_mul_i32 s53, 256, s[sgprWorkGroup0]              // wgp0 * MT0
_v_add_u32 v0, s53, v0                             // coord 0 = (tid0/MI_m)*4 + waveG0*MIB_m + MT0*SG0
s_mul_i32 s53, 256, s[sgprWorkGroup1]              // wgp1 * MT1
_v_add_u32 v1, s53, v1                             // coord 1 = (tid0%MI_m) + waveG1*MIB_n + MT1*SG1
GW_B0_E0_21:

/* edge=0, allocate 2 sgpr. perBatchTmpS=2 perBatchMaskS=0 perElementMaskS=0 elementsPerBatch=16 */
/* optSingleColVgpr=1 optSharedColVgpr=0 optSGPRUsage=BufferLoad_Mask optSrdIncForRow=1 */
s_sleep 3 // optimization: sync and wait
s_barrier

/******************************************/
/* Global Write Batch #0 (d1,d0,vc1,vc0) = */
/*    (0,0,0,0:vw2); (0,1,0,0:vw2); (0,0,1,0:vw2); (0,1,1,0:vw2); (0,0,2,0:vw2); (0,1,2,0:vw2); (0,0,3,0:vw2); (0,1,3,0:vw2); (1,0,0,0:vw2); (1,1,0,0:vw2); (1,0,1,0:vw2); (1,1,1,0:vw2); (1,0,2,0:vw2); (1,1,2,0:vw2); (1,0,3,0:vw2); (1,1,3,0:vw2) */
/******************************************/

/* calc coords, apply mask, and issue loads (if necessary) */
/* (d1,vc1,d0,vc0)=(0,0,0,0) */
/* (d1,vc1,d0,vc0)=(0,0,1,0) */
	;; [unrolled: 1-line block ×16, first 2 shown]
_v_add_lshl_u32 v10, v3, v0, 0x1                   // optSingleColVgpr scaleToBpe: sharedAddrVgpr <- cinRowPtr + coord0, scaled by BPE. BSHERE:coord0=0, coord0Vgpr=0
v_accvgpr_read_b32 v[vgprValuC+12], acc0 // copy acc to vreg[0]
v_accvgpr_read_b32 v[vgprValuC+13], acc16 // copy acc to vreg[1]
v_accvgpr_read_b32 v[vgprValuC+14], acc32 // copy acc to vreg[2]
v_accvgpr_read_b32 v[vgprValuC+15], acc48 // copy acc to vreg[3]
v_accvgpr_read_b32 v[vgprValuC+16], acc1 // copy acc to vreg[4]
v_accvgpr_read_b32 v[vgprValuC+17], acc17 // copy acc to vreg[5]
v_accvgpr_read_b32 v[vgprValuC+18], acc33 // copy acc to vreg[6]
v_accvgpr_read_b32 v[vgprValuC+19], acc49 // copy acc to vreg[7]
v_accvgpr_read_b32 v[vgprValuC+20], acc2 // copy acc to vreg[8]
v_accvgpr_read_b32 v[vgprValuC+21], acc18 // copy acc to vreg[9]
v_accvgpr_read_b32 v[vgprValuC+22], acc34 // copy acc to vreg[10]
v_accvgpr_read_b32 v[vgprValuC+23], acc50 // copy acc to vreg[11]
v_accvgpr_read_b32 v[vgprValuC+24], acc3 // copy acc to vreg[12]
v_accvgpr_read_b32 v[vgprValuC+25], acc19 // copy acc to vreg[13]
v_accvgpr_read_b32 v[vgprValuC+26], acc35 // copy acc to vreg[14]
v_accvgpr_read_b32 v[vgprValuC+27], acc51 // copy acc to vreg[15]
v_accvgpr_read_b32 v[vgprValuC+28], acc4 // copy acc to vreg[16]
v_accvgpr_read_b32 v[vgprValuC+29], acc20 // copy acc to vreg[17]
v_accvgpr_read_b32 v[vgprValuC+30], acc36 // copy acc to vreg[18]
v_accvgpr_read_b32 v[vgprValuC+31], acc52 // copy acc to vreg[19]
v_accvgpr_read_b32 v[vgprValuC+32], acc5 // copy acc to vreg[20]
v_accvgpr_read_b32 v[vgprValuC+33], acc21 // copy acc to vreg[21]
v_accvgpr_read_b32 v[vgprValuC+34], acc37 // copy acc to vreg[22]
v_accvgpr_read_b32 v[vgprValuC+35], acc53 // copy acc to vreg[23]
v_accvgpr_read_b32 v[vgprValuC+36], acc6 // copy acc to vreg[24]
v_accvgpr_read_b32 v[vgprValuC+37], acc22 // copy acc to vreg[25]
v_accvgpr_read_b32 v[vgprValuC+38], acc38 // copy acc to vreg[26]
v_accvgpr_read_b32 v[vgprValuC+39], acc54 // copy acc to vreg[27]
v_accvgpr_read_b32 v[vgprValuC+40], acc7 // copy acc to vreg[28]
v_accvgpr_read_b32 v[vgprValuC+41], acc23 // copy acc to vreg[29]
v_accvgpr_read_b32 v[vgprValuC+42], acc39 // copy acc to vreg[30]
v_accvgpr_read_b32 v[vgprValuC+43], acc55 // copy acc to vreg[31]
s_nop 1                                            // 2 wait states required before reading vgpr

/* apply mask, calc new C and issue writes */
v_mov_b32 v7, 0xffff0000                           // mask for pack two bfloat16 element to 32bit
v_mov_b32 v8, 0x7fff0000                           // fp32 Nan
v_mov_b32 v9, 0x7fff                               // rounding bias for bfloat16
v_cmp_u_f32 s[54:55], v[vgprValuC+12], v[vgprValuC+12] // check Nan
v_bfe_u32 v6, v[vgprValuC+12], 16, 1               // Non-Nan case: store lsb of bf16
v_add3_u32 v6, v[vgprValuC+12], v6, v9             // Non-Nan case: add lsb and the increment for rounding
v_cndmask_b32 v[vgprValuC+12], v6, v8, s[54:55]    // 
v_lshrrev_b32 v[vgprValuC+12], 16, v[vgprValuC+12] // convert C to bf16
v_cmp_u_f32 s[54:55], v[vgprValuC+13], v[vgprValuC+13] // check Nan
v_bfe_u32 v6, v[vgprValuC+13], 16, 1               // Non-Nan case: store lsb of bf16
v_add3_u32 v6, v[vgprValuC+13], v6, v9             // Non-Nan case: add lsb and the increment for rounding
v_cndmask_b32 v[vgprValuC+13], v6, v8, s[54:55]    // 
v_and_or_b32 v12, v[vgprValuC+13], v7, v[vgprValuC+12] // pack two bf16 to dword
v_cmp_u_f32 s[54:55], v[vgprValuC+14], v[vgprValuC+14] // check Nan
v_bfe_u32 v6, v[vgprValuC+14], 16, 1               // Non-Nan case: store lsb of bf16
v_add3_u32 v6, v[vgprValuC+14], v6, v9             // Non-Nan case: add lsb and the increment for rounding
v_cndmask_b32 v[vgprValuC+14], v6, v8, s[54:55]    // 
v_lshrrev_b32 v[vgprValuC+14], 16, v[vgprValuC+14] // convert C to bf16
v_cmp_u_f32 s[54:55], v[vgprValuC+15], v[vgprValuC+15] // check Nan
v_bfe_u32 v6, v[vgprValuC+15], 16, 1               // Non-Nan case: store lsb of bf16
v_add3_u32 v6, v[vgprValuC+15], v6, v9             // Non-Nan case: add lsb and the increment for rounding
v_cndmask_b32 v[vgprValuC+15], v6, v8, s[54:55]    // 
v_and_or_b32 v14, v[vgprValuC+15], v7, v[vgprValuC+14] // pack two bf16 to dword
	;; [unrolled: 10-line block ×16, first 2 shown]
_buffer_store_b32 v12, v10, s[sgprSrdD:sgprSrdD+3], 0, offen, offset:0 // store D
_buffer_store_b32 v14, v10, s[sgprSrdD:sgprSrdD+3], 0, offen, offset:256 // store D
s_lshl_b32  s54, s[sgprStrideD1J], 1               // incToNextRow: Scale by BPE
s_add_u32  s[sgprSrdD+0], s[sgprSrdD+0], s54       // incToNextRow: gra SRD += inc(lower)
s_addc_u32  s[sgprSrdD+1], s[sgprSrdD+1], 0        // incToNextRow: gra SRD += inc(upper)
_buffer_store_b32 v16, v10, s[sgprSrdD:sgprSrdD+3], 0, offen, offset:0 // store D
_buffer_store_b32 v18, v10, s[sgprSrdD:sgprSrdD+3], 0, offen, offset:256 // store D
s_lshl_b32  s54, s[sgprStrideD1J], 1               // incToNextRow: Scale by BPE
s_add_u32  s[sgprSrdD+0], s[sgprSrdD+0], s54       // incToNextRow: gra SRD += inc(lower)
s_addc_u32  s[sgprSrdD+1], s[sgprSrdD+1], 0        // incToNextRow: gra SRD += inc(upper)
	;; [unrolled: 5-line block ×3, first 2 shown]
_buffer_store_b32 v24, v10, s[sgprSrdD:sgprSrdD+3], 0, offen, offset:0 // store D
_buffer_store_b32 v26, v10, s[sgprSrdD:sgprSrdD+3], 0, offen, offset:256 // store D
s_mul_i32 s54, s[sgprStrideD1J], 10                // scale StrideD *= numRows(5) * bpe
s_add_u32  s[sgprSrdD+0], s[sgprSrdD+0], s54       // incToNextRow: gra SRD += inc(lower)
s_addc_u32  s[sgprSrdD+1], s[sgprSrdD+1], 0        // incToNextRow: gra SRD += inc(upper)
_buffer_store_b32 v28, v10, s[sgprSrdD:sgprSrdD+3], 0, offen, offset:0 // store D
_buffer_store_b32 v30, v10, s[sgprSrdD:sgprSrdD+3], 0, offen, offset:256 // store D
s_lshl_b32  s54, s[sgprStrideD1J], 1               // incToNextRow: Scale by BPE
s_add_u32  s[sgprSrdD+0], s[sgprSrdD+0], s54       // incToNextRow: gra SRD += inc(lower)
s_addc_u32  s[sgprSrdD+1], s[sgprSrdD+1], 0        // incToNextRow: gra SRD += inc(upper)
_buffer_store_b32 v32, v10, s[sgprSrdD:sgprSrdD+3], 0, offen, offset:0 // store D
_buffer_store_b32 v34, v10, s[sgprSrdD:sgprSrdD+3], 0, offen, offset:256 // store D
s_lshl_b32  s54, s[sgprStrideD1J], 1               // incToNextRow: Scale by BPE
	;; [unrolled: 5-line block ×3, first 2 shown]
s_add_u32  s[sgprSrdD+0], s[sgprSrdD+0], s54       // incToNextRow: gra SRD += inc(lower)
s_addc_u32  s[sgprSrdD+1], s[sgprSrdD+1], 0        // incToNextRow: gra SRD += inc(upper)
_buffer_store_b32 v40, v10, s[sgprSrdD:sgprSrdD+3], 0, offen, offset:0 // store D
_buffer_store_b32 v42, v10, s[sgprSrdD:sgprSrdD+3], 0, offen, offset:256 // store D
s_nop 0                                            // 1 wait state required when next inst writes vgprs held by previous dwordx4 store inst
/* optSingleColVgpr=1 optSharedColVgpr=0 optSGPRUsage=BufferLoad_Mask optSrdIncForRow=1 */
s_sleep 3 // optimization: sync and wait
s_barrier

/******************************************/
/* Global Write Batch #1 (d1,d0,vc1,vc0) = */
/*    (2,0,0,0:vw2); (2,1,0,0:vw2); (2,0,1,0:vw2); (2,1,1,0:vw2); (2,0,2,0:vw2); (2,1,2,0:vw2); (2,0,3,0:vw2); (2,1,3,0:vw2); (3,0,0,0:vw2); (3,1,0,0:vw2); (3,0,1,0:vw2); (3,1,1,0:vw2); (3,0,2,0:vw2); (3,1,2,0:vw2); (3,0,3,0:vw2); (3,1,3,0:vw2) */
/******************************************/

/* calc coords, apply mask, and issue loads (if necessary) */
/* (d1,vc1,d0,vc0)=(2,0,0,0) */
/* (d1,vc1,d0,vc0)=(2,0,1,0) */
	;; [unrolled: 1-line block ×16, first 2 shown]
v_accvgpr_read_b32 v[vgprValuC+12], acc8 // copy acc to vreg[32]
v_accvgpr_read_b32 v[vgprValuC+13], acc24 // copy acc to vreg[33]
v_accvgpr_read_b32 v[vgprValuC+14], acc40 // copy acc to vreg[34]
v_accvgpr_read_b32 v[vgprValuC+15], acc56 // copy acc to vreg[35]
v_accvgpr_read_b32 v[vgprValuC+16], acc9 // copy acc to vreg[36]
v_accvgpr_read_b32 v[vgprValuC+17], acc25 // copy acc to vreg[37]
v_accvgpr_read_b32 v[vgprValuC+18], acc41 // copy acc to vreg[38]
v_accvgpr_read_b32 v[vgprValuC+19], acc57 // copy acc to vreg[39]
v_accvgpr_read_b32 v[vgprValuC+20], acc10 // copy acc to vreg[40]
v_accvgpr_read_b32 v[vgprValuC+21], acc26 // copy acc to vreg[41]
v_accvgpr_read_b32 v[vgprValuC+22], acc42 // copy acc to vreg[42]
v_accvgpr_read_b32 v[vgprValuC+23], acc58 // copy acc to vreg[43]
v_accvgpr_read_b32 v[vgprValuC+24], acc11 // copy acc to vreg[44]
v_accvgpr_read_b32 v[vgprValuC+25], acc27 // copy acc to vreg[45]
v_accvgpr_read_b32 v[vgprValuC+26], acc43 // copy acc to vreg[46]
v_accvgpr_read_b32 v[vgprValuC+27], acc59 // copy acc to vreg[47]
v_accvgpr_read_b32 v[vgprValuC+28], acc12 // copy acc to vreg[48]
v_accvgpr_read_b32 v[vgprValuC+29], acc28 // copy acc to vreg[49]
v_accvgpr_read_b32 v[vgprValuC+30], acc44 // copy acc to vreg[50]
v_accvgpr_read_b32 v[vgprValuC+31], acc60 // copy acc to vreg[51]
v_accvgpr_read_b32 v[vgprValuC+32], acc13 // copy acc to vreg[52]
v_accvgpr_read_b32 v[vgprValuC+33], acc29 // copy acc to vreg[53]
v_accvgpr_read_b32 v[vgprValuC+34], acc45 // copy acc to vreg[54]
v_accvgpr_read_b32 v[vgprValuC+35], acc61 // copy acc to vreg[55]
v_accvgpr_read_b32 v[vgprValuC+36], acc14 // copy acc to vreg[56]
v_accvgpr_read_b32 v[vgprValuC+37], acc30 // copy acc to vreg[57]
v_accvgpr_read_b32 v[vgprValuC+38], acc46 // copy acc to vreg[58]
v_accvgpr_read_b32 v[vgprValuC+39], acc62 // copy acc to vreg[59]
v_accvgpr_read_b32 v[vgprValuC+40], acc15 // copy acc to vreg[60]
v_accvgpr_read_b32 v[vgprValuC+41], acc31 // copy acc to vreg[61]
v_accvgpr_read_b32 v[vgprValuC+42], acc47 // copy acc to vreg[62]
v_accvgpr_read_b32 v[vgprValuC+43], acc63 // copy acc to vreg[63]
s_nop 1                                            // 2 wait states required before reading vgpr

/* apply mask, calc new C and issue writes */
v_mov_b32 v7, 0xffff0000                           // mask for pack two bfloat16 element to 32bit
v_mov_b32 v8, 0x7fff0000                           // fp32 Nan
v_mov_b32 v9, 0x7fff                               // rounding bias for bfloat16
v_cmp_u_f32 s[54:55], v[vgprValuC+12], v[vgprValuC+12] // check Nan
v_bfe_u32 v6, v[vgprValuC+12], 16, 1               // Non-Nan case: store lsb of bf16
v_add3_u32 v6, v[vgprValuC+12], v6, v9             // Non-Nan case: add lsb and the increment for rounding
v_cndmask_b32 v[vgprValuC+12], v6, v8, s[54:55]    // 
v_lshrrev_b32 v[vgprValuC+12], 16, v[vgprValuC+12] // convert C to bf16
v_cmp_u_f32 s[54:55], v[vgprValuC+13], v[vgprValuC+13] // check Nan
v_bfe_u32 v6, v[vgprValuC+13], 16, 1               // Non-Nan case: store lsb of bf16
v_add3_u32 v6, v[vgprValuC+13], v6, v9             // Non-Nan case: add lsb and the increment for rounding
v_cndmask_b32 v[vgprValuC+13], v6, v8, s[54:55]    // 
v_and_or_b32 v12, v[vgprValuC+13], v7, v[vgprValuC+12] // pack two bf16 to dword
v_cmp_u_f32 s[54:55], v[vgprValuC+14], v[vgprValuC+14] // check Nan
v_bfe_u32 v6, v[vgprValuC+14], 16, 1               // Non-Nan case: store lsb of bf16
v_add3_u32 v6, v[vgprValuC+14], v6, v9             // Non-Nan case: add lsb and the increment for rounding
v_cndmask_b32 v[vgprValuC+14], v6, v8, s[54:55]    // 
v_lshrrev_b32 v[vgprValuC+14], 16, v[vgprValuC+14] // convert C to bf16
v_cmp_u_f32 s[54:55], v[vgprValuC+15], v[vgprValuC+15] // check Nan
v_bfe_u32 v6, v[vgprValuC+15], 16, 1               // Non-Nan case: store lsb of bf16
v_add3_u32 v6, v[vgprValuC+15], v6, v9             // Non-Nan case: add lsb and the increment for rounding
v_cndmask_b32 v[vgprValuC+15], v6, v8, s[54:55]    // 
v_and_or_b32 v14, v[vgprValuC+15], v7, v[vgprValuC+14] // pack two bf16 to dword
	;; [unrolled: 10-line block ×16, first 2 shown]
s_mul_i32 s54, s[sgprStrideD1J], 10                // scale StrideD *= numRows(5) * bpe
s_add_u32  s[sgprSrdD+0], s[sgprSrdD+0], s54       // incToNextRow: gra SRD += inc(lower)
s_addc_u32  s[sgprSrdD+1], s[sgprSrdD+1], 0        // incToNextRow: gra SRD += inc(upper)
_buffer_store_b32 v12, v10, s[sgprSrdD:sgprSrdD+3], 0, offen, offset:0 // store D
_buffer_store_b32 v14, v10, s[sgprSrdD:sgprSrdD+3], 0, offen, offset:256 // store D
s_lshl_b32  s54, s[sgprStrideD1J], 1               // incToNextRow: Scale by BPE
s_add_u32  s[sgprSrdD+0], s[sgprSrdD+0], s54       // incToNextRow: gra SRD += inc(lower)
s_addc_u32  s[sgprSrdD+1], s[sgprSrdD+1], 0        // incToNextRow: gra SRD += inc(upper)
_buffer_store_b32 v16, v10, s[sgprSrdD:sgprSrdD+3], 0, offen, offset:0 // store D
_buffer_store_b32 v18, v10, s[sgprSrdD:sgprSrdD+3], 0, offen, offset:256 // store D
s_lshl_b32  s54, s[sgprStrideD1J], 1               // incToNextRow: Scale by BPE
	;; [unrolled: 5-line block ×3, first 2 shown]
s_add_u32  s[sgprSrdD+0], s[sgprSrdD+0], s54       // incToNextRow: gra SRD += inc(lower)
s_addc_u32  s[sgprSrdD+1], s[sgprSrdD+1], 0        // incToNextRow: gra SRD += inc(upper)
_buffer_store_b32 v24, v10, s[sgprSrdD:sgprSrdD+3], 0, offen, offset:0 // store D
_buffer_store_b32 v26, v10, s[sgprSrdD:sgprSrdD+3], 0, offen, offset:256 // store D
s_mul_i32 s54, s[sgprStrideD1J], 10                // scale StrideD *= numRows(5) * bpe
s_add_u32  s[sgprSrdD+0], s[sgprSrdD+0], s54       // incToNextRow: gra SRD += inc(lower)
s_addc_u32  s[sgprSrdD+1], s[sgprSrdD+1], 0        // incToNextRow: gra SRD += inc(upper)
_buffer_store_b32 v28, v10, s[sgprSrdD:sgprSrdD+3], 0, offen, offset:0 // store D
_buffer_store_b32 v30, v10, s[sgprSrdD:sgprSrdD+3], 0, offen, offset:256 // store D
s_lshl_b32  s54, s[sgprStrideD1J], 1               // incToNextRow: Scale by BPE
s_add_u32  s[sgprSrdD+0], s[sgprSrdD+0], s54       // incToNextRow: gra SRD += inc(lower)
s_addc_u32  s[sgprSrdD+1], s[sgprSrdD+1], 0        // incToNextRow: gra SRD += inc(upper)
_buffer_store_b32 v32, v10, s[sgprSrdD:sgprSrdD+3], 0, offen, offset:0 // store D
_buffer_store_b32 v34, v10, s[sgprSrdD:sgprSrdD+3], 0, offen, offset:256 // store D
s_lshl_b32  s54, s[sgprStrideD1J], 1               // incToNextRow: Scale by BPE
	;; [unrolled: 5-line block ×3, first 2 shown]
s_add_u32  s[sgprSrdD+0], s[sgprSrdD+0], s54       // incToNextRow: gra SRD += inc(lower)
s_addc_u32  s[sgprSrdD+1], s[sgprSrdD+1], 0        // incToNextRow: gra SRD += inc(upper)
_buffer_store_b32 v40, v10, s[sgprSrdD:sgprSrdD+3], 0, offen, offset:0 // store D
_buffer_store_b32 v42, v10, s[sgprSrdD:sgprSrdD+3], 0, offen, offset:256 // store D
s_nop 0                                            // 1 wait state required when next inst writes vgprs held by previous dwordx4 store inst
/* optSingleColVgpr=1 optSharedColVgpr=0 optSGPRUsage=BufferLoad_Mask optSrdIncForRow=1 */
s_sleep 3 // optimization: sync and wait
s_barrier

/******************************************/
/* Global Write Batch #2 (d1,d0,vc1,vc0) = */
/*    (4,0,0,0:vw2); (4,1,0,0:vw2); (4,0,1,0:vw2); (4,1,1,0:vw2); (4,0,2,0:vw2); (4,1,2,0:vw2); (4,0,3,0:vw2); (4,1,3,0:vw2); (5,0,0,0:vw2); (5,1,0,0:vw2); (5,0,1,0:vw2); (5,1,1,0:vw2); (5,0,2,0:vw2); (5,1,2,0:vw2); (5,0,3,0:vw2); (5,1,3,0:vw2) */
/******************************************/

/* calc coords, apply mask, and issue loads (if necessary) */
/* (d1,vc1,d0,vc0)=(4,0,0,0) */
/* (d1,vc1,d0,vc0)=(4,0,1,0) */
	;; [unrolled: 1-line block ×16, first 2 shown]
v_accvgpr_read_b32 v[vgprValuC+12], acc64 // copy acc to vreg[64]
v_accvgpr_read_b32 v[vgprValuC+13], acc80 // copy acc to vreg[65]
v_accvgpr_read_b32 v[vgprValuC+14], acc96 // copy acc to vreg[66]
v_accvgpr_read_b32 v[vgprValuC+15], acc112 // copy acc to vreg[67]
v_accvgpr_read_b32 v[vgprValuC+16], acc65 // copy acc to vreg[68]
v_accvgpr_read_b32 v[vgprValuC+17], acc81 // copy acc to vreg[69]
v_accvgpr_read_b32 v[vgprValuC+18], acc97 // copy acc to vreg[70]
v_accvgpr_read_b32 v[vgprValuC+19], acc113 // copy acc to vreg[71]
v_accvgpr_read_b32 v[vgprValuC+20], acc66 // copy acc to vreg[72]
v_accvgpr_read_b32 v[vgprValuC+21], acc82 // copy acc to vreg[73]
v_accvgpr_read_b32 v[vgprValuC+22], acc98 // copy acc to vreg[74]
v_accvgpr_read_b32 v[vgprValuC+23], acc114 // copy acc to vreg[75]
v_accvgpr_read_b32 v[vgprValuC+24], acc67 // copy acc to vreg[76]
v_accvgpr_read_b32 v[vgprValuC+25], acc83 // copy acc to vreg[77]
v_accvgpr_read_b32 v[vgprValuC+26], acc99 // copy acc to vreg[78]
v_accvgpr_read_b32 v[vgprValuC+27], acc115 // copy acc to vreg[79]
v_accvgpr_read_b32 v[vgprValuC+28], acc68 // copy acc to vreg[80]
v_accvgpr_read_b32 v[vgprValuC+29], acc84 // copy acc to vreg[81]
v_accvgpr_read_b32 v[vgprValuC+30], acc100 // copy acc to vreg[82]
v_accvgpr_read_b32 v[vgprValuC+31], acc116 // copy acc to vreg[83]
v_accvgpr_read_b32 v[vgprValuC+32], acc69 // copy acc to vreg[84]
v_accvgpr_read_b32 v[vgprValuC+33], acc85 // copy acc to vreg[85]
v_accvgpr_read_b32 v[vgprValuC+34], acc101 // copy acc to vreg[86]
v_accvgpr_read_b32 v[vgprValuC+35], acc117 // copy acc to vreg[87]
v_accvgpr_read_b32 v[vgprValuC+36], acc70 // copy acc to vreg[88]
v_accvgpr_read_b32 v[vgprValuC+37], acc86 // copy acc to vreg[89]
v_accvgpr_read_b32 v[vgprValuC+38], acc102 // copy acc to vreg[90]
v_accvgpr_read_b32 v[vgprValuC+39], acc118 // copy acc to vreg[91]
v_accvgpr_read_b32 v[vgprValuC+40], acc71 // copy acc to vreg[92]
v_accvgpr_read_b32 v[vgprValuC+41], acc87 // copy acc to vreg[93]
v_accvgpr_read_b32 v[vgprValuC+42], acc103 // copy acc to vreg[94]
v_accvgpr_read_b32 v[vgprValuC+43], acc119 // copy acc to vreg[95]
s_nop 1                                            // 2 wait states required before reading vgpr

/* apply mask, calc new C and issue writes */
v_mov_b32 v7, 0xffff0000                           // mask for pack two bfloat16 element to 32bit
v_mov_b32 v8, 0x7fff0000                           // fp32 Nan
v_mov_b32 v9, 0x7fff                               // rounding bias for bfloat16
v_cmp_u_f32 s[54:55], v[vgprValuC+12], v[vgprValuC+12] // check Nan
v_bfe_u32 v6, v[vgprValuC+12], 16, 1               // Non-Nan case: store lsb of bf16
v_add3_u32 v6, v[vgprValuC+12], v6, v9             // Non-Nan case: add lsb and the increment for rounding
v_cndmask_b32 v[vgprValuC+12], v6, v8, s[54:55]    // 
v_lshrrev_b32 v[vgprValuC+12], 16, v[vgprValuC+12] // convert C to bf16
v_cmp_u_f32 s[54:55], v[vgprValuC+13], v[vgprValuC+13] // check Nan
v_bfe_u32 v6, v[vgprValuC+13], 16, 1               // Non-Nan case: store lsb of bf16
v_add3_u32 v6, v[vgprValuC+13], v6, v9             // Non-Nan case: add lsb and the increment for rounding
v_cndmask_b32 v[vgprValuC+13], v6, v8, s[54:55]    // 
v_and_or_b32 v12, v[vgprValuC+13], v7, v[vgprValuC+12] // pack two bf16 to dword
v_cmp_u_f32 s[54:55], v[vgprValuC+14], v[vgprValuC+14] // check Nan
v_bfe_u32 v6, v[vgprValuC+14], 16, 1               // Non-Nan case: store lsb of bf16
v_add3_u32 v6, v[vgprValuC+14], v6, v9             // Non-Nan case: add lsb and the increment for rounding
v_cndmask_b32 v[vgprValuC+14], v6, v8, s[54:55]    // 
v_lshrrev_b32 v[vgprValuC+14], 16, v[vgprValuC+14] // convert C to bf16
v_cmp_u_f32 s[54:55], v[vgprValuC+15], v[vgprValuC+15] // check Nan
v_bfe_u32 v6, v[vgprValuC+15], 16, 1               // Non-Nan case: store lsb of bf16
v_add3_u32 v6, v[vgprValuC+15], v6, v9             // Non-Nan case: add lsb and the increment for rounding
v_cndmask_b32 v[vgprValuC+15], v6, v8, s[54:55]    // 
v_and_or_b32 v14, v[vgprValuC+15], v7, v[vgprValuC+14] // pack two bf16 to dword
	;; [unrolled: 10-line block ×16, first 2 shown]
s_mul_i32 s54, s[sgprStrideD1J], 74                // scale StrideD *= numRows(37) * bpe
s_add_u32  s[sgprSrdD+0], s[sgprSrdD+0], s54       // incToNextRow: gra SRD += inc(lower)
s_addc_u32  s[sgprSrdD+1], s[sgprSrdD+1], 0        // incToNextRow: gra SRD += inc(upper)
_buffer_store_b32 v12, v10, s[sgprSrdD:sgprSrdD+3], 0, offen, offset:0 // store D
_buffer_store_b32 v14, v10, s[sgprSrdD:sgprSrdD+3], 0, offen, offset:256 // store D
s_lshl_b32  s54, s[sgprStrideD1J], 1               // incToNextRow: Scale by BPE
s_add_u32  s[sgprSrdD+0], s[sgprSrdD+0], s54       // incToNextRow: gra SRD += inc(lower)
s_addc_u32  s[sgprSrdD+1], s[sgprSrdD+1], 0        // incToNextRow: gra SRD += inc(upper)
_buffer_store_b32 v16, v10, s[sgprSrdD:sgprSrdD+3], 0, offen, offset:0 // store D
_buffer_store_b32 v18, v10, s[sgprSrdD:sgprSrdD+3], 0, offen, offset:256 // store D
s_lshl_b32  s54, s[sgprStrideD1J], 1               // incToNextRow: Scale by BPE
	;; [unrolled: 5-line block ×3, first 2 shown]
s_add_u32  s[sgprSrdD+0], s[sgprSrdD+0], s54       // incToNextRow: gra SRD += inc(lower)
s_addc_u32  s[sgprSrdD+1], s[sgprSrdD+1], 0        // incToNextRow: gra SRD += inc(upper)
_buffer_store_b32 v24, v10, s[sgprSrdD:sgprSrdD+3], 0, offen, offset:0 // store D
_buffer_store_b32 v26, v10, s[sgprSrdD:sgprSrdD+3], 0, offen, offset:256 // store D
s_mul_i32 s54, s[sgprStrideD1J], 10                // scale StrideD *= numRows(5) * bpe
s_add_u32  s[sgprSrdD+0], s[sgprSrdD+0], s54       // incToNextRow: gra SRD += inc(lower)
s_addc_u32  s[sgprSrdD+1], s[sgprSrdD+1], 0        // incToNextRow: gra SRD += inc(upper)
_buffer_store_b32 v28, v10, s[sgprSrdD:sgprSrdD+3], 0, offen, offset:0 // store D
_buffer_store_b32 v30, v10, s[sgprSrdD:sgprSrdD+3], 0, offen, offset:256 // store D
s_lshl_b32  s54, s[sgprStrideD1J], 1               // incToNextRow: Scale by BPE
s_add_u32  s[sgprSrdD+0], s[sgprSrdD+0], s54       // incToNextRow: gra SRD += inc(lower)
s_addc_u32  s[sgprSrdD+1], s[sgprSrdD+1], 0        // incToNextRow: gra SRD += inc(upper)
_buffer_store_b32 v32, v10, s[sgprSrdD:sgprSrdD+3], 0, offen, offset:0 // store D
_buffer_store_b32 v34, v10, s[sgprSrdD:sgprSrdD+3], 0, offen, offset:256 // store D
s_lshl_b32  s54, s[sgprStrideD1J], 1               // incToNextRow: Scale by BPE
	;; [unrolled: 5-line block ×3, first 2 shown]
s_add_u32  s[sgprSrdD+0], s[sgprSrdD+0], s54       // incToNextRow: gra SRD += inc(lower)
s_addc_u32  s[sgprSrdD+1], s[sgprSrdD+1], 0        // incToNextRow: gra SRD += inc(upper)
_buffer_store_b32 v40, v10, s[sgprSrdD:sgprSrdD+3], 0, offen, offset:0 // store D
_buffer_store_b32 v42, v10, s[sgprSrdD:sgprSrdD+3], 0, offen, offset:256 // store D
s_nop 0                                            // 1 wait state required when next inst writes vgprs held by previous dwordx4 store inst
/* optSingleColVgpr=1 optSharedColVgpr=0 optSGPRUsage=BufferLoad_Mask optSrdIncForRow=1 */
s_sleep 3 // optimization: sync and wait
s_barrier

/******************************************/
/* Global Write Batch #3 (d1,d0,vc1,vc0) = */
/*    (6,0,0,0:vw2); (6,1,0,0:vw2); (6,0,1,0:vw2); (6,1,1,0:vw2); (6,0,2,0:vw2); (6,1,2,0:vw2); (6,0,3,0:vw2); (6,1,3,0:vw2); (7,0,0,0:vw2); (7,1,0,0:vw2); (7,0,1,0:vw2); (7,1,1,0:vw2); (7,0,2,0:vw2); (7,1,2,0:vw2); (7,0,3,0:vw2); (7,1,3,0:vw2) */
/******************************************/

/* calc coords, apply mask, and issue loads (if necessary) */
/* (d1,vc1,d0,vc0)=(6,0,0,0) */
/* (d1,vc1,d0,vc0)=(6,0,1,0) */
	;; [unrolled: 1-line block ×16, first 2 shown]
v_accvgpr_read_b32 v[vgprValuC+12], acc72 // copy acc to vreg[96]
v_accvgpr_read_b32 v[vgprValuC+13], acc88 // copy acc to vreg[97]
v_accvgpr_read_b32 v[vgprValuC+14], acc104 // copy acc to vreg[98]
v_accvgpr_read_b32 v[vgprValuC+15], acc120 // copy acc to vreg[99]
v_accvgpr_read_b32 v[vgprValuC+16], acc73 // copy acc to vreg[100]
v_accvgpr_read_b32 v[vgprValuC+17], acc89 // copy acc to vreg[101]
v_accvgpr_read_b32 v[vgprValuC+18], acc105 // copy acc to vreg[102]
v_accvgpr_read_b32 v[vgprValuC+19], acc121 // copy acc to vreg[103]
v_accvgpr_read_b32 v[vgprValuC+20], acc74 // copy acc to vreg[104]
v_accvgpr_read_b32 v[vgprValuC+21], acc90 // copy acc to vreg[105]
v_accvgpr_read_b32 v[vgprValuC+22], acc106 // copy acc to vreg[106]
v_accvgpr_read_b32 v[vgprValuC+23], acc122 // copy acc to vreg[107]
v_accvgpr_read_b32 v[vgprValuC+24], acc75 // copy acc to vreg[108]
v_accvgpr_read_b32 v[vgprValuC+25], acc91 // copy acc to vreg[109]
v_accvgpr_read_b32 v[vgprValuC+26], acc107 // copy acc to vreg[110]
v_accvgpr_read_b32 v[vgprValuC+27], acc123 // copy acc to vreg[111]
v_accvgpr_read_b32 v[vgprValuC+28], acc76 // copy acc to vreg[112]
v_accvgpr_read_b32 v[vgprValuC+29], acc92 // copy acc to vreg[113]
v_accvgpr_read_b32 v[vgprValuC+30], acc108 // copy acc to vreg[114]
v_accvgpr_read_b32 v[vgprValuC+31], acc124 // copy acc to vreg[115]
v_accvgpr_read_b32 v[vgprValuC+32], acc77 // copy acc to vreg[116]
v_accvgpr_read_b32 v[vgprValuC+33], acc93 // copy acc to vreg[117]
v_accvgpr_read_b32 v[vgprValuC+34], acc109 // copy acc to vreg[118]
v_accvgpr_read_b32 v[vgprValuC+35], acc125 // copy acc to vreg[119]
v_accvgpr_read_b32 v[vgprValuC+36], acc78 // copy acc to vreg[120]
v_accvgpr_read_b32 v[vgprValuC+37], acc94 // copy acc to vreg[121]
v_accvgpr_read_b32 v[vgprValuC+38], acc110 // copy acc to vreg[122]
v_accvgpr_read_b32 v[vgprValuC+39], acc126 // copy acc to vreg[123]
v_accvgpr_read_b32 v[vgprValuC+40], acc79 // copy acc to vreg[124]
v_accvgpr_read_b32 v[vgprValuC+41], acc95 // copy acc to vreg[125]
v_accvgpr_read_b32 v[vgprValuC+42], acc111 // copy acc to vreg[126]
v_accvgpr_read_b32 v[vgprValuC+43], acc127 // copy acc to vreg[127]
s_nop 1                                            // 2 wait states required before reading vgpr

/* apply mask, calc new C and issue writes */
v_mov_b32 v7, 0xffff0000                           // mask for pack two bfloat16 element to 32bit
v_mov_b32 v8, 0x7fff0000                           // fp32 Nan
v_mov_b32 v9, 0x7fff                               // rounding bias for bfloat16
v_cmp_u_f32 s[54:55], v[vgprValuC+12], v[vgprValuC+12] // check Nan
v_bfe_u32 v6, v[vgprValuC+12], 16, 1               // Non-Nan case: store lsb of bf16
v_add3_u32 v6, v[vgprValuC+12], v6, v9             // Non-Nan case: add lsb and the increment for rounding
v_cndmask_b32 v[vgprValuC+12], v6, v8, s[54:55]    // 
v_lshrrev_b32 v[vgprValuC+12], 16, v[vgprValuC+12] // convert C to bf16
v_cmp_u_f32 s[54:55], v[vgprValuC+13], v[vgprValuC+13] // check Nan
v_bfe_u32 v6, v[vgprValuC+13], 16, 1               // Non-Nan case: store lsb of bf16
v_add3_u32 v6, v[vgprValuC+13], v6, v9             // Non-Nan case: add lsb and the increment for rounding
v_cndmask_b32 v[vgprValuC+13], v6, v8, s[54:55]    // 
v_and_or_b32 v12, v[vgprValuC+13], v7, v[vgprValuC+12] // pack two bf16 to dword
v_cmp_u_f32 s[54:55], v[vgprValuC+14], v[vgprValuC+14] // check Nan
v_bfe_u32 v6, v[vgprValuC+14], 16, 1               // Non-Nan case: store lsb of bf16
v_add3_u32 v6, v[vgprValuC+14], v6, v9             // Non-Nan case: add lsb and the increment for rounding
v_cndmask_b32 v[vgprValuC+14], v6, v8, s[54:55]    // 
v_lshrrev_b32 v[vgprValuC+14], 16, v[vgprValuC+14] // convert C to bf16
v_cmp_u_f32 s[54:55], v[vgprValuC+15], v[vgprValuC+15] // check Nan
v_bfe_u32 v6, v[vgprValuC+15], 16, 1               // Non-Nan case: store lsb of bf16
v_add3_u32 v6, v[vgprValuC+15], v6, v9             // Non-Nan case: add lsb and the increment for rounding
v_cndmask_b32 v[vgprValuC+15], v6, v8, s[54:55]    // 
v_and_or_b32 v14, v[vgprValuC+15], v7, v[vgprValuC+14] // pack two bf16 to dword
	;; [unrolled: 10-line block ×16, first 2 shown]
s_mul_i32 s54, s[sgprStrideD1J], 10                // scale StrideD *= numRows(5) * bpe
s_add_u32  s[sgprSrdD+0], s[sgprSrdD+0], s54       // incToNextRow: gra SRD += inc(lower)
s_addc_u32  s[sgprSrdD+1], s[sgprSrdD+1], 0        // incToNextRow: gra SRD += inc(upper)
_buffer_store_b32 v12, v10, s[sgprSrdD:sgprSrdD+3], 0, offen, offset:0 // store D
_buffer_store_b32 v14, v10, s[sgprSrdD:sgprSrdD+3], 0, offen, offset:256 // store D
s_lshl_b32  s54, s[sgprStrideD1J], 1               // incToNextRow: Scale by BPE
s_add_u32  s[sgprSrdD+0], s[sgprSrdD+0], s54       // incToNextRow: gra SRD += inc(lower)
s_addc_u32  s[sgprSrdD+1], s[sgprSrdD+1], 0        // incToNextRow: gra SRD += inc(upper)
_buffer_store_b32 v16, v10, s[sgprSrdD:sgprSrdD+3], 0, offen, offset:0 // store D
_buffer_store_b32 v18, v10, s[sgprSrdD:sgprSrdD+3], 0, offen, offset:256 // store D
s_lshl_b32  s54, s[sgprStrideD1J], 1               // incToNextRow: Scale by BPE
	;; [unrolled: 5-line block ×3, first 2 shown]
s_add_u32  s[sgprSrdD+0], s[sgprSrdD+0], s54       // incToNextRow: gra SRD += inc(lower)
s_addc_u32  s[sgprSrdD+1], s[sgprSrdD+1], 0        // incToNextRow: gra SRD += inc(upper)
_buffer_store_b32 v24, v10, s[sgprSrdD:sgprSrdD+3], 0, offen, offset:0 // store D
_buffer_store_b32 v26, v10, s[sgprSrdD:sgprSrdD+3], 0, offen, offset:256 // store D
s_mul_i32 s54, s[sgprStrideD1J], 10                // scale StrideD *= numRows(5) * bpe
s_add_u32  s[sgprSrdD+0], s[sgprSrdD+0], s54       // incToNextRow: gra SRD += inc(lower)
s_addc_u32  s[sgprSrdD+1], s[sgprSrdD+1], 0        // incToNextRow: gra SRD += inc(upper)
_buffer_store_b32 v28, v10, s[sgprSrdD:sgprSrdD+3], 0, offen, offset:0 // store D
_buffer_store_b32 v30, v10, s[sgprSrdD:sgprSrdD+3], 0, offen, offset:256 // store D
s_lshl_b32  s54, s[sgprStrideD1J], 1               // incToNextRow: Scale by BPE
s_add_u32  s[sgprSrdD+0], s[sgprSrdD+0], s54       // incToNextRow: gra SRD += inc(lower)
s_addc_u32  s[sgprSrdD+1], s[sgprSrdD+1], 0        // incToNextRow: gra SRD += inc(upper)
_buffer_store_b32 v32, v10, s[sgprSrdD:sgprSrdD+3], 0, offen, offset:0 // store D
_buffer_store_b32 v34, v10, s[sgprSrdD:sgprSrdD+3], 0, offen, offset:256 // store D
s_lshl_b32  s54, s[sgprStrideD1J], 1               // incToNextRow: Scale by BPE
	;; [unrolled: 5-line block ×3, first 2 shown]
s_add_u32  s[sgprSrdD+0], s[sgprSrdD+0], s54       // incToNextRow: gra SRD += inc(lower)
s_addc_u32  s[sgprSrdD+1], s[sgprSrdD+1], 0        // incToNextRow: gra SRD += inc(upper)
_buffer_store_b32 v40, v10, s[sgprSrdD:sgprSrdD+3], 0, offen, offset:0 // store D
_buffer_store_b32 v42, v10, s[sgprSrdD:sgprSrdD+3], 0, offen, offset:256 // store D
s_nop 0                                            // 1 wait state required when next inst writes vgprs held by previous dwordx4 store inst
/* optSingleColVgpr=1 optSharedColVgpr=0 optSGPRUsage=BufferLoad_Mask optSrdIncForRow=1 */
s_sleep 3 // optimization: sync and wait
s_barrier

/******************************************/
/* Global Write Batch #4 (d1,d0,vc1,vc0) = */
/*    (8,0,0,0:vw2); (8,1,0,0:vw2); (8,0,1,0:vw2); (8,1,1,0:vw2); (8,0,2,0:vw2); (8,1,2,0:vw2); (8,0,3,0:vw2); (8,1,3,0:vw2); (9,0,0,0:vw2); (9,1,0,0:vw2); (9,0,1,0:vw2); (9,1,1,0:vw2); (9,0,2,0:vw2); (9,1,2,0:vw2); (9,0,3,0:vw2); (9,1,3,0:vw2) */
/******************************************/

/* calc coords, apply mask, and issue loads (if necessary) */
/* (d1,vc1,d0,vc0)=(8,0,0,0) */
/* (d1,vc1,d0,vc0)=(8,0,1,0) */
	;; [unrolled: 1-line block ×16, first 2 shown]
v_accvgpr_read_b32 v[vgprValuC+12], acc128 // copy acc to vreg[128]
v_accvgpr_read_b32 v[vgprValuC+13], acc144 // copy acc to vreg[129]
v_accvgpr_read_b32 v[vgprValuC+14], acc160 // copy acc to vreg[130]
v_accvgpr_read_b32 v[vgprValuC+15], acc176 // copy acc to vreg[131]
v_accvgpr_read_b32 v[vgprValuC+16], acc129 // copy acc to vreg[132]
v_accvgpr_read_b32 v[vgprValuC+17], acc145 // copy acc to vreg[133]
v_accvgpr_read_b32 v[vgprValuC+18], acc161 // copy acc to vreg[134]
v_accvgpr_read_b32 v[vgprValuC+19], acc177 // copy acc to vreg[135]
v_accvgpr_read_b32 v[vgprValuC+20], acc130 // copy acc to vreg[136]
v_accvgpr_read_b32 v[vgprValuC+21], acc146 // copy acc to vreg[137]
v_accvgpr_read_b32 v[vgprValuC+22], acc162 // copy acc to vreg[138]
v_accvgpr_read_b32 v[vgprValuC+23], acc178 // copy acc to vreg[139]
v_accvgpr_read_b32 v[vgprValuC+24], acc131 // copy acc to vreg[140]
v_accvgpr_read_b32 v[vgprValuC+25], acc147 // copy acc to vreg[141]
v_accvgpr_read_b32 v[vgprValuC+26], acc163 // copy acc to vreg[142]
v_accvgpr_read_b32 v[vgprValuC+27], acc179 // copy acc to vreg[143]
v_accvgpr_read_b32 v[vgprValuC+28], acc132 // copy acc to vreg[144]
v_accvgpr_read_b32 v[vgprValuC+29], acc148 // copy acc to vreg[145]
v_accvgpr_read_b32 v[vgprValuC+30], acc164 // copy acc to vreg[146]
v_accvgpr_read_b32 v[vgprValuC+31], acc180 // copy acc to vreg[147]
v_accvgpr_read_b32 v[vgprValuC+32], acc133 // copy acc to vreg[148]
v_accvgpr_read_b32 v[vgprValuC+33], acc149 // copy acc to vreg[149]
v_accvgpr_read_b32 v[vgprValuC+34], acc165 // copy acc to vreg[150]
v_accvgpr_read_b32 v[vgprValuC+35], acc181 // copy acc to vreg[151]
v_accvgpr_read_b32 v[vgprValuC+36], acc134 // copy acc to vreg[152]
v_accvgpr_read_b32 v[vgprValuC+37], acc150 // copy acc to vreg[153]
v_accvgpr_read_b32 v[vgprValuC+38], acc166 // copy acc to vreg[154]
v_accvgpr_read_b32 v[vgprValuC+39], acc182 // copy acc to vreg[155]
v_accvgpr_read_b32 v[vgprValuC+40], acc135 // copy acc to vreg[156]
v_accvgpr_read_b32 v[vgprValuC+41], acc151 // copy acc to vreg[157]
v_accvgpr_read_b32 v[vgprValuC+42], acc167 // copy acc to vreg[158]
v_accvgpr_read_b32 v[vgprValuC+43], acc183 // copy acc to vreg[159]
s_nop 1                                            // 2 wait states required before reading vgpr

/* apply mask, calc new C and issue writes */
v_mov_b32 v7, 0xffff0000                           // mask for pack two bfloat16 element to 32bit
v_mov_b32 v8, 0x7fff0000                           // fp32 Nan
v_mov_b32 v9, 0x7fff                               // rounding bias for bfloat16
v_cmp_u_f32 s[54:55], v[vgprValuC+12], v[vgprValuC+12] // check Nan
v_bfe_u32 v6, v[vgprValuC+12], 16, 1               // Non-Nan case: store lsb of bf16
v_add3_u32 v6, v[vgprValuC+12], v6, v9             // Non-Nan case: add lsb and the increment for rounding
v_cndmask_b32 v[vgprValuC+12], v6, v8, s[54:55]    // 
v_lshrrev_b32 v[vgprValuC+12], 16, v[vgprValuC+12] // convert C to bf16
v_cmp_u_f32 s[54:55], v[vgprValuC+13], v[vgprValuC+13] // check Nan
v_bfe_u32 v6, v[vgprValuC+13], 16, 1               // Non-Nan case: store lsb of bf16
v_add3_u32 v6, v[vgprValuC+13], v6, v9             // Non-Nan case: add lsb and the increment for rounding
v_cndmask_b32 v[vgprValuC+13], v6, v8, s[54:55]    // 
v_and_or_b32 v12, v[vgprValuC+13], v7, v[vgprValuC+12] // pack two bf16 to dword
v_cmp_u_f32 s[54:55], v[vgprValuC+14], v[vgprValuC+14] // check Nan
v_bfe_u32 v6, v[vgprValuC+14], 16, 1               // Non-Nan case: store lsb of bf16
v_add3_u32 v6, v[vgprValuC+14], v6, v9             // Non-Nan case: add lsb and the increment for rounding
v_cndmask_b32 v[vgprValuC+14], v6, v8, s[54:55]    // 
v_lshrrev_b32 v[vgprValuC+14], 16, v[vgprValuC+14] // convert C to bf16
v_cmp_u_f32 s[54:55], v[vgprValuC+15], v[vgprValuC+15] // check Nan
v_bfe_u32 v6, v[vgprValuC+15], 16, 1               // Non-Nan case: store lsb of bf16
v_add3_u32 v6, v[vgprValuC+15], v6, v9             // Non-Nan case: add lsb and the increment for rounding
v_cndmask_b32 v[vgprValuC+15], v6, v8, s[54:55]    // 
v_and_or_b32 v14, v[vgprValuC+15], v7, v[vgprValuC+14] // pack two bf16 to dword
	;; [unrolled: 10-line block ×16, first 2 shown]
s_mul_i32 s54, s[sgprStrideD1J], 74                // scale StrideD *= numRows(37) * bpe
s_add_u32  s[sgprSrdD+0], s[sgprSrdD+0], s54       // incToNextRow: gra SRD += inc(lower)
s_addc_u32  s[sgprSrdD+1], s[sgprSrdD+1], 0        // incToNextRow: gra SRD += inc(upper)
_buffer_store_b32 v12, v10, s[sgprSrdD:sgprSrdD+3], 0, offen, offset:0 // store D
_buffer_store_b32 v14, v10, s[sgprSrdD:sgprSrdD+3], 0, offen, offset:256 // store D
s_lshl_b32  s54, s[sgprStrideD1J], 1               // incToNextRow: Scale by BPE
s_add_u32  s[sgprSrdD+0], s[sgprSrdD+0], s54       // incToNextRow: gra SRD += inc(lower)
s_addc_u32  s[sgprSrdD+1], s[sgprSrdD+1], 0        // incToNextRow: gra SRD += inc(upper)
_buffer_store_b32 v16, v10, s[sgprSrdD:sgprSrdD+3], 0, offen, offset:0 // store D
_buffer_store_b32 v18, v10, s[sgprSrdD:sgprSrdD+3], 0, offen, offset:256 // store D
s_lshl_b32  s54, s[sgprStrideD1J], 1               // incToNextRow: Scale by BPE
s_add_u32  s[sgprSrdD+0], s[sgprSrdD+0], s54       // incToNextRow: gra SRD += inc(lower)
s_addc_u32  s[sgprSrdD+1], s[sgprSrdD+1], 0        // incToNextRow: gra SRD += inc(upper)
_buffer_store_b32 v20, v10, s[sgprSrdD:sgprSrdD+3], 0, offen, offset:0 // store D
_buffer_store_b32 v22, v10, s[sgprSrdD:sgprSrdD+3], 0, offen, offset:256 // store D
s_lshl_b32  s54, s[sgprStrideD1J], 1               // incToNextRow: Scale by BPE
s_add_u32  s[sgprSrdD+0], s[sgprSrdD+0], s54       // incToNextRow: gra SRD += inc(lower)
s_addc_u32  s[sgprSrdD+1], s[sgprSrdD+1], 0        // incToNextRow: gra SRD += inc(upper)
_buffer_store_b32 v24, v10, s[sgprSrdD:sgprSrdD+3], 0, offen, offset:0 // store D
_buffer_store_b32 v26, v10, s[sgprSrdD:sgprSrdD+3], 0, offen, offset:256 // store D
s_mul_i32 s54, s[sgprStrideD1J], 10                // scale StrideD *= numRows(5) * bpe
s_add_u32  s[sgprSrdD+0], s[sgprSrdD+0], s54       // incToNextRow: gra SRD += inc(lower)
s_addc_u32  s[sgprSrdD+1], s[sgprSrdD+1], 0        // incToNextRow: gra SRD += inc(upper)
_buffer_store_b32 v28, v10, s[sgprSrdD:sgprSrdD+3], 0, offen, offset:0 // store D
_buffer_store_b32 v30, v10, s[sgprSrdD:sgprSrdD+3], 0, offen, offset:256 // store D
s_lshl_b32  s54, s[sgprStrideD1J], 1               // incToNextRow: Scale by BPE
s_add_u32  s[sgprSrdD+0], s[sgprSrdD+0], s54       // incToNextRow: gra SRD += inc(lower)
s_addc_u32  s[sgprSrdD+1], s[sgprSrdD+1], 0        // incToNextRow: gra SRD += inc(upper)
_buffer_store_b32 v32, v10, s[sgprSrdD:sgprSrdD+3], 0, offen, offset:0 // store D
_buffer_store_b32 v34, v10, s[sgprSrdD:sgprSrdD+3], 0, offen, offset:256 // store D
s_lshl_b32  s54, s[sgprStrideD1J], 1               // incToNextRow: Scale by BPE
	;; [unrolled: 5-line block ×3, first 2 shown]
s_add_u32  s[sgprSrdD+0], s[sgprSrdD+0], s54       // incToNextRow: gra SRD += inc(lower)
s_addc_u32  s[sgprSrdD+1], s[sgprSrdD+1], 0        // incToNextRow: gra SRD += inc(upper)
_buffer_store_b32 v40, v10, s[sgprSrdD:sgprSrdD+3], 0, offen, offset:0 // store D
_buffer_store_b32 v42, v10, s[sgprSrdD:sgprSrdD+3], 0, offen, offset:256 // store D
s_nop 0                                            // 1 wait state required when next inst writes vgprs held by previous dwordx4 store inst
/* optSingleColVgpr=1 optSharedColVgpr=0 optSGPRUsage=BufferLoad_Mask optSrdIncForRow=1 */
s_sleep 3 // optimization: sync and wait
s_barrier

/******************************************/
/* Global Write Batch #5 (d1,d0,vc1,vc0) = */
/*    (10,0,0,0:vw2); (10,1,0,0:vw2); (10,0,1,0:vw2); (10,1,1,0:vw2); (10,0,2,0:vw2); (10,1,2,0:vw2); (10,0,3,0:vw2); (10,1,3,0:vw2); (11,0,0,0:vw2); (11,1,0,0:vw2); (11,0,1,0:vw2); (11,1,1,0:vw2); (11,0,2,0:vw2); (11,1,2,0:vw2); (11,0,3,0:vw2); (11,1,3,0:vw2) */
/******************************************/

/* calc coords, apply mask, and issue loads (if necessary) */
/* (d1,vc1,d0,vc0)=(10,0,0,0) */
/* (d1,vc1,d0,vc0)=(10,0,1,0) */
/* (d1,vc1,d0,vc0)=(10,1,0,0) */
/* (d1,vc1,d0,vc0)=(10,1,1,0) */
/* (d1,vc1,d0,vc0)=(10,2,0,0) */
/* (d1,vc1,d0,vc0)=(10,2,1,0) */
/* (d1,vc1,d0,vc0)=(10,3,0,0) */
/* (d1,vc1,d0,vc0)=(10,3,1,0) */
/* (d1,vc1,d0,vc0)=(11,0,0,0) */
/* (d1,vc1,d0,vc0)=(11,0,1,0) */
/* (d1,vc1,d0,vc0)=(11,1,0,0) */
/* (d1,vc1,d0,vc0)=(11,1,1,0) */
/* (d1,vc1,d0,vc0)=(11,2,0,0) */
/* (d1,vc1,d0,vc0)=(11,2,1,0) */
/* (d1,vc1,d0,vc0)=(11,3,0,0) */
/* (d1,vc1,d0,vc0)=(11,3,1,0) */
v_accvgpr_read_b32 v[vgprValuC+12], acc136 // copy acc to vreg[160]
v_accvgpr_read_b32 v[vgprValuC+13], acc152 // copy acc to vreg[161]
v_accvgpr_read_b32 v[vgprValuC+14], acc168 // copy acc to vreg[162]
v_accvgpr_read_b32 v[vgprValuC+15], acc184 // copy acc to vreg[163]
v_accvgpr_read_b32 v[vgprValuC+16], acc137 // copy acc to vreg[164]
v_accvgpr_read_b32 v[vgprValuC+17], acc153 // copy acc to vreg[165]
v_accvgpr_read_b32 v[vgprValuC+18], acc169 // copy acc to vreg[166]
v_accvgpr_read_b32 v[vgprValuC+19], acc185 // copy acc to vreg[167]
v_accvgpr_read_b32 v[vgprValuC+20], acc138 // copy acc to vreg[168]
v_accvgpr_read_b32 v[vgprValuC+21], acc154 // copy acc to vreg[169]
v_accvgpr_read_b32 v[vgprValuC+22], acc170 // copy acc to vreg[170]
v_accvgpr_read_b32 v[vgprValuC+23], acc186 // copy acc to vreg[171]
v_accvgpr_read_b32 v[vgprValuC+24], acc139 // copy acc to vreg[172]
v_accvgpr_read_b32 v[vgprValuC+25], acc155 // copy acc to vreg[173]
v_accvgpr_read_b32 v[vgprValuC+26], acc171 // copy acc to vreg[174]
v_accvgpr_read_b32 v[vgprValuC+27], acc187 // copy acc to vreg[175]
v_accvgpr_read_b32 v[vgprValuC+28], acc140 // copy acc to vreg[176]
v_accvgpr_read_b32 v[vgprValuC+29], acc156 // copy acc to vreg[177]
v_accvgpr_read_b32 v[vgprValuC+30], acc172 // copy acc to vreg[178]
v_accvgpr_read_b32 v[vgprValuC+31], acc188 // copy acc to vreg[179]
v_accvgpr_read_b32 v[vgprValuC+32], acc141 // copy acc to vreg[180]
v_accvgpr_read_b32 v[vgprValuC+33], acc157 // copy acc to vreg[181]
v_accvgpr_read_b32 v[vgprValuC+34], acc173 // copy acc to vreg[182]
v_accvgpr_read_b32 v[vgprValuC+35], acc189 // copy acc to vreg[183]
v_accvgpr_read_b32 v[vgprValuC+36], acc142 // copy acc to vreg[184]
v_accvgpr_read_b32 v[vgprValuC+37], acc158 // copy acc to vreg[185]
v_accvgpr_read_b32 v[vgprValuC+38], acc174 // copy acc to vreg[186]
v_accvgpr_read_b32 v[vgprValuC+39], acc190 // copy acc to vreg[187]
v_accvgpr_read_b32 v[vgprValuC+40], acc143 // copy acc to vreg[188]
v_accvgpr_read_b32 v[vgprValuC+41], acc159 // copy acc to vreg[189]
v_accvgpr_read_b32 v[vgprValuC+42], acc175 // copy acc to vreg[190]
v_accvgpr_read_b32 v[vgprValuC+43], acc191 // copy acc to vreg[191]
s_nop 1                                            // 2 wait states required before reading vgpr

/* apply mask, calc new C and issue writes */
v_mov_b32 v7, 0xffff0000                           // mask for pack two bfloat16 element to 32bit
v_mov_b32 v8, 0x7fff0000                           // fp32 Nan
v_mov_b32 v9, 0x7fff                               // rounding bias for bfloat16
v_cmp_u_f32 s[54:55], v[vgprValuC+12], v[vgprValuC+12] // check Nan
v_bfe_u32 v6, v[vgprValuC+12], 16, 1               // Non-Nan case: store lsb of bf16
v_add3_u32 v6, v[vgprValuC+12], v6, v9             // Non-Nan case: add lsb and the increment for rounding
v_cndmask_b32 v[vgprValuC+12], v6, v8, s[54:55]    // 
v_lshrrev_b32 v[vgprValuC+12], 16, v[vgprValuC+12] // convert C to bf16
v_cmp_u_f32 s[54:55], v[vgprValuC+13], v[vgprValuC+13] // check Nan
v_bfe_u32 v6, v[vgprValuC+13], 16, 1               // Non-Nan case: store lsb of bf16
v_add3_u32 v6, v[vgprValuC+13], v6, v9             // Non-Nan case: add lsb and the increment for rounding
v_cndmask_b32 v[vgprValuC+13], v6, v8, s[54:55]    // 
v_and_or_b32 v12, v[vgprValuC+13], v7, v[vgprValuC+12] // pack two bf16 to dword
v_cmp_u_f32 s[54:55], v[vgprValuC+14], v[vgprValuC+14] // check Nan
v_bfe_u32 v6, v[vgprValuC+14], 16, 1               // Non-Nan case: store lsb of bf16
v_add3_u32 v6, v[vgprValuC+14], v6, v9             // Non-Nan case: add lsb and the increment for rounding
v_cndmask_b32 v[vgprValuC+14], v6, v8, s[54:55]    // 
v_lshrrev_b32 v[vgprValuC+14], 16, v[vgprValuC+14] // convert C to bf16
v_cmp_u_f32 s[54:55], v[vgprValuC+15], v[vgprValuC+15] // check Nan
v_bfe_u32 v6, v[vgprValuC+15], 16, 1               // Non-Nan case: store lsb of bf16
v_add3_u32 v6, v[vgprValuC+15], v6, v9             // Non-Nan case: add lsb and the increment for rounding
v_cndmask_b32 v[vgprValuC+15], v6, v8, s[54:55]    // 
v_and_or_b32 v14, v[vgprValuC+15], v7, v[vgprValuC+14] // pack two bf16 to dword
	;; [unrolled: 10-line block ×16, first 2 shown]
s_mul_i32 s54, s[sgprStrideD1J], 10                // scale StrideD *= numRows(5) * bpe
s_add_u32  s[sgprSrdD+0], s[sgprSrdD+0], s54       // incToNextRow: gra SRD += inc(lower)
s_addc_u32  s[sgprSrdD+1], s[sgprSrdD+1], 0        // incToNextRow: gra SRD += inc(upper)
_buffer_store_b32 v12, v10, s[sgprSrdD:sgprSrdD+3], 0, offen, offset:0 // store D
_buffer_store_b32 v14, v10, s[sgprSrdD:sgprSrdD+3], 0, offen, offset:256 // store D
s_lshl_b32  s54, s[sgprStrideD1J], 1               // incToNextRow: Scale by BPE
s_add_u32  s[sgprSrdD+0], s[sgprSrdD+0], s54       // incToNextRow: gra SRD += inc(lower)
s_addc_u32  s[sgprSrdD+1], s[sgprSrdD+1], 0        // incToNextRow: gra SRD += inc(upper)
_buffer_store_b32 v16, v10, s[sgprSrdD:sgprSrdD+3], 0, offen, offset:0 // store D
_buffer_store_b32 v18, v10, s[sgprSrdD:sgprSrdD+3], 0, offen, offset:256 // store D
s_lshl_b32  s54, s[sgprStrideD1J], 1               // incToNextRow: Scale by BPE
	;; [unrolled: 5-line block ×3, first 2 shown]
s_add_u32  s[sgprSrdD+0], s[sgprSrdD+0], s54       // incToNextRow: gra SRD += inc(lower)
s_addc_u32  s[sgprSrdD+1], s[sgprSrdD+1], 0        // incToNextRow: gra SRD += inc(upper)
_buffer_store_b32 v24, v10, s[sgprSrdD:sgprSrdD+3], 0, offen, offset:0 // store D
_buffer_store_b32 v26, v10, s[sgprSrdD:sgprSrdD+3], 0, offen, offset:256 // store D
s_mul_i32 s54, s[sgprStrideD1J], 10                // scale StrideD *= numRows(5) * bpe
s_add_u32  s[sgprSrdD+0], s[sgprSrdD+0], s54       // incToNextRow: gra SRD += inc(lower)
s_addc_u32  s[sgprSrdD+1], s[sgprSrdD+1], 0        // incToNextRow: gra SRD += inc(upper)
_buffer_store_b32 v28, v10, s[sgprSrdD:sgprSrdD+3], 0, offen, offset:0 // store D
_buffer_store_b32 v30, v10, s[sgprSrdD:sgprSrdD+3], 0, offen, offset:256 // store D
s_lshl_b32  s54, s[sgprStrideD1J], 1               // incToNextRow: Scale by BPE
s_add_u32  s[sgprSrdD+0], s[sgprSrdD+0], s54       // incToNextRow: gra SRD += inc(lower)
s_addc_u32  s[sgprSrdD+1], s[sgprSrdD+1], 0        // incToNextRow: gra SRD += inc(upper)
_buffer_store_b32 v32, v10, s[sgprSrdD:sgprSrdD+3], 0, offen, offset:0 // store D
_buffer_store_b32 v34, v10, s[sgprSrdD:sgprSrdD+3], 0, offen, offset:256 // store D
s_lshl_b32  s54, s[sgprStrideD1J], 1               // incToNextRow: Scale by BPE
	;; [unrolled: 5-line block ×3, first 2 shown]
s_add_u32  s[sgprSrdD+0], s[sgprSrdD+0], s54       // incToNextRow: gra SRD += inc(lower)
s_addc_u32  s[sgprSrdD+1], s[sgprSrdD+1], 0        // incToNextRow: gra SRD += inc(upper)
_buffer_store_b32 v40, v10, s[sgprSrdD:sgprSrdD+3], 0, offen, offset:0 // store D
_buffer_store_b32 v42, v10, s[sgprSrdD:sgprSrdD+3], 0, offen, offset:256 // store D
s_nop 0                                            // 1 wait state required when next inst writes vgprs held by previous dwordx4 store inst
/* optSingleColVgpr=1 optSharedColVgpr=0 optSGPRUsage=BufferLoad_Mask optSrdIncForRow=1 */
s_sleep 3 // optimization: sync and wait
s_barrier

/******************************************/
/* Global Write Batch #6 (d1,d0,vc1,vc0) = */
/*    (12,0,0,0:vw2); (12,1,0,0:vw2); (12,0,1,0:vw2); (12,1,1,0:vw2); (12,0,2,0:vw2); (12,1,2,0:vw2); (12,0,3,0:vw2); (12,1,3,0:vw2); (13,0,0,0:vw2); (13,1,0,0:vw2); (13,0,1,0:vw2); (13,1,1,0:vw2); (13,0,2,0:vw2); (13,1,2,0:vw2); (13,0,3,0:vw2); (13,1,3,0:vw2) */
/******************************************/

/* calc coords, apply mask, and issue loads (if necessary) */
/* (d1,vc1,d0,vc0)=(12,0,0,0) */
/* (d1,vc1,d0,vc0)=(12,0,1,0) */
	;; [unrolled: 1-line block ×16, first 2 shown]
v_accvgpr_read_b32 v[vgprValuC+12], acc192 // copy acc to vreg[192]
v_accvgpr_read_b32 v[vgprValuC+13], acc208 // copy acc to vreg[193]
v_accvgpr_read_b32 v[vgprValuC+14], acc224 // copy acc to vreg[194]
v_accvgpr_read_b32 v[vgprValuC+15], acc240 // copy acc to vreg[195]
v_accvgpr_read_b32 v[vgprValuC+16], acc193 // copy acc to vreg[196]
v_accvgpr_read_b32 v[vgprValuC+17], acc209 // copy acc to vreg[197]
v_accvgpr_read_b32 v[vgprValuC+18], acc225 // copy acc to vreg[198]
v_accvgpr_read_b32 v[vgprValuC+19], acc241 // copy acc to vreg[199]
v_accvgpr_read_b32 v[vgprValuC+20], acc194 // copy acc to vreg[200]
v_accvgpr_read_b32 v[vgprValuC+21], acc210 // copy acc to vreg[201]
v_accvgpr_read_b32 v[vgprValuC+22], acc226 // copy acc to vreg[202]
v_accvgpr_read_b32 v[vgprValuC+23], acc242 // copy acc to vreg[203]
v_accvgpr_read_b32 v[vgprValuC+24], acc195 // copy acc to vreg[204]
v_accvgpr_read_b32 v[vgprValuC+25], acc211 // copy acc to vreg[205]
v_accvgpr_read_b32 v[vgprValuC+26], acc227 // copy acc to vreg[206]
v_accvgpr_read_b32 v[vgprValuC+27], acc243 // copy acc to vreg[207]
v_accvgpr_read_b32 v[vgprValuC+28], acc196 // copy acc to vreg[208]
v_accvgpr_read_b32 v[vgprValuC+29], acc212 // copy acc to vreg[209]
v_accvgpr_read_b32 v[vgprValuC+30], acc228 // copy acc to vreg[210]
v_accvgpr_read_b32 v[vgprValuC+31], acc244 // copy acc to vreg[211]
v_accvgpr_read_b32 v[vgprValuC+32], acc197 // copy acc to vreg[212]
v_accvgpr_read_b32 v[vgprValuC+33], acc213 // copy acc to vreg[213]
v_accvgpr_read_b32 v[vgprValuC+34], acc229 // copy acc to vreg[214]
v_accvgpr_read_b32 v[vgprValuC+35], acc245 // copy acc to vreg[215]
v_accvgpr_read_b32 v[vgprValuC+36], acc198 // copy acc to vreg[216]
v_accvgpr_read_b32 v[vgprValuC+37], acc214 // copy acc to vreg[217]
v_accvgpr_read_b32 v[vgprValuC+38], acc230 // copy acc to vreg[218]
v_accvgpr_read_b32 v[vgprValuC+39], acc246 // copy acc to vreg[219]
v_accvgpr_read_b32 v[vgprValuC+40], acc199 // copy acc to vreg[220]
v_accvgpr_read_b32 v[vgprValuC+41], acc215 // copy acc to vreg[221]
v_accvgpr_read_b32 v[vgprValuC+42], acc231 // copy acc to vreg[222]
v_accvgpr_read_b32 v[vgprValuC+43], acc247 // copy acc to vreg[223]
s_nop 1                                            // 2 wait states required before reading vgpr

/* apply mask, calc new C and issue writes */
v_mov_b32 v7, 0xffff0000                           // mask for pack two bfloat16 element to 32bit
v_mov_b32 v8, 0x7fff0000                           // fp32 Nan
v_mov_b32 v9, 0x7fff                               // rounding bias for bfloat16
v_cmp_u_f32 s[54:55], v[vgprValuC+12], v[vgprValuC+12] // check Nan
v_bfe_u32 v6, v[vgprValuC+12], 16, 1               // Non-Nan case: store lsb of bf16
v_add3_u32 v6, v[vgprValuC+12], v6, v9             // Non-Nan case: add lsb and the increment for rounding
v_cndmask_b32 v[vgprValuC+12], v6, v8, s[54:55]    // 
v_lshrrev_b32 v[vgprValuC+12], 16, v[vgprValuC+12] // convert C to bf16
v_cmp_u_f32 s[54:55], v[vgprValuC+13], v[vgprValuC+13] // check Nan
v_bfe_u32 v6, v[vgprValuC+13], 16, 1               // Non-Nan case: store lsb of bf16
v_add3_u32 v6, v[vgprValuC+13], v6, v9             // Non-Nan case: add lsb and the increment for rounding
v_cndmask_b32 v[vgprValuC+13], v6, v8, s[54:55]    // 
v_and_or_b32 v12, v[vgprValuC+13], v7, v[vgprValuC+12] // pack two bf16 to dword
v_cmp_u_f32 s[54:55], v[vgprValuC+14], v[vgprValuC+14] // check Nan
v_bfe_u32 v6, v[vgprValuC+14], 16, 1               // Non-Nan case: store lsb of bf16
v_add3_u32 v6, v[vgprValuC+14], v6, v9             // Non-Nan case: add lsb and the increment for rounding
v_cndmask_b32 v[vgprValuC+14], v6, v8, s[54:55]    // 
v_lshrrev_b32 v[vgprValuC+14], 16, v[vgprValuC+14] // convert C to bf16
v_cmp_u_f32 s[54:55], v[vgprValuC+15], v[vgprValuC+15] // check Nan
v_bfe_u32 v6, v[vgprValuC+15], 16, 1               // Non-Nan case: store lsb of bf16
v_add3_u32 v6, v[vgprValuC+15], v6, v9             // Non-Nan case: add lsb and the increment for rounding
v_cndmask_b32 v[vgprValuC+15], v6, v8, s[54:55]    // 
v_and_or_b32 v14, v[vgprValuC+15], v7, v[vgprValuC+14] // pack two bf16 to dword
	;; [unrolled: 10-line block ×16, first 2 shown]
s_mul_i32 s54, s[sgprStrideD1J], 74                // scale StrideD *= numRows(37) * bpe
s_add_u32  s[sgprSrdD+0], s[sgprSrdD+0], s54       // incToNextRow: gra SRD += inc(lower)
s_addc_u32  s[sgprSrdD+1], s[sgprSrdD+1], 0        // incToNextRow: gra SRD += inc(upper)
_buffer_store_b32 v12, v10, s[sgprSrdD:sgprSrdD+3], 0, offen, offset:0 // store D
_buffer_store_b32 v14, v10, s[sgprSrdD:sgprSrdD+3], 0, offen, offset:256 // store D
s_lshl_b32  s54, s[sgprStrideD1J], 1               // incToNextRow: Scale by BPE
s_add_u32  s[sgprSrdD+0], s[sgprSrdD+0], s54       // incToNextRow: gra SRD += inc(lower)
s_addc_u32  s[sgprSrdD+1], s[sgprSrdD+1], 0        // incToNextRow: gra SRD += inc(upper)
_buffer_store_b32 v16, v10, s[sgprSrdD:sgprSrdD+3], 0, offen, offset:0 // store D
_buffer_store_b32 v18, v10, s[sgprSrdD:sgprSrdD+3], 0, offen, offset:256 // store D
s_lshl_b32  s54, s[sgprStrideD1J], 1               // incToNextRow: Scale by BPE
	;; [unrolled: 5-line block ×3, first 2 shown]
s_add_u32  s[sgprSrdD+0], s[sgprSrdD+0], s54       // incToNextRow: gra SRD += inc(lower)
s_addc_u32  s[sgprSrdD+1], s[sgprSrdD+1], 0        // incToNextRow: gra SRD += inc(upper)
_buffer_store_b32 v24, v10, s[sgprSrdD:sgprSrdD+3], 0, offen, offset:0 // store D
_buffer_store_b32 v26, v10, s[sgprSrdD:sgprSrdD+3], 0, offen, offset:256 // store D
s_mul_i32 s54, s[sgprStrideD1J], 10                // scale StrideD *= numRows(5) * bpe
s_add_u32  s[sgprSrdD+0], s[sgprSrdD+0], s54       // incToNextRow: gra SRD += inc(lower)
s_addc_u32  s[sgprSrdD+1], s[sgprSrdD+1], 0        // incToNextRow: gra SRD += inc(upper)
_buffer_store_b32 v28, v10, s[sgprSrdD:sgprSrdD+3], 0, offen, offset:0 // store D
_buffer_store_b32 v30, v10, s[sgprSrdD:sgprSrdD+3], 0, offen, offset:256 // store D
s_lshl_b32  s54, s[sgprStrideD1J], 1               // incToNextRow: Scale by BPE
s_add_u32  s[sgprSrdD+0], s[sgprSrdD+0], s54       // incToNextRow: gra SRD += inc(lower)
s_addc_u32  s[sgprSrdD+1], s[sgprSrdD+1], 0        // incToNextRow: gra SRD += inc(upper)
_buffer_store_b32 v32, v10, s[sgprSrdD:sgprSrdD+3], 0, offen, offset:0 // store D
_buffer_store_b32 v34, v10, s[sgprSrdD:sgprSrdD+3], 0, offen, offset:256 // store D
s_lshl_b32  s54, s[sgprStrideD1J], 1               // incToNextRow: Scale by BPE
	;; [unrolled: 5-line block ×3, first 2 shown]
s_add_u32  s[sgprSrdD+0], s[sgprSrdD+0], s54       // incToNextRow: gra SRD += inc(lower)
s_addc_u32  s[sgprSrdD+1], s[sgprSrdD+1], 0        // incToNextRow: gra SRD += inc(upper)
_buffer_store_b32 v40, v10, s[sgprSrdD:sgprSrdD+3], 0, offen, offset:0 // store D
_buffer_store_b32 v42, v10, s[sgprSrdD:sgprSrdD+3], 0, offen, offset:256 // store D
s_nop 0                                            // 1 wait state required when next inst writes vgprs held by previous dwordx4 store inst
/* optSingleColVgpr=1 optSharedColVgpr=0 optSGPRUsage=BufferLoad_Mask optSrdIncForRow=1 */
s_sleep 3 // optimization: sync and wait
s_barrier

/******************************************/
/* Global Write Batch #7 (d1,d0,vc1,vc0) = */
/*    (14,0,0,0:vw2); (14,1,0,0:vw2); (14,0,1,0:vw2); (14,1,1,0:vw2); (14,0,2,0:vw2); (14,1,2,0:vw2); (14,0,3,0:vw2); (14,1,3,0:vw2); (15,0,0,0:vw2); (15,1,0,0:vw2); (15,0,1,0:vw2); (15,1,1,0:vw2); (15,0,2,0:vw2); (15,1,2,0:vw2); (15,0,3,0:vw2); (15,1,3,0:vw2) */
/******************************************/

/* calc coords, apply mask, and issue loads (if necessary) */
/* (d1,vc1,d0,vc0)=(14,0,0,0) */
/* (d1,vc1,d0,vc0)=(14,0,1,0) */
	;; [unrolled: 1-line block ×16, first 2 shown]
v_accvgpr_read_b32 v[vgprValuC+12], acc200 // copy acc to vreg[224]
v_accvgpr_read_b32 v[vgprValuC+13], acc216 // copy acc to vreg[225]
v_accvgpr_read_b32 v[vgprValuC+14], acc232 // copy acc to vreg[226]
v_accvgpr_read_b32 v[vgprValuC+15], acc248 // copy acc to vreg[227]
v_accvgpr_read_b32 v[vgprValuC+16], acc201 // copy acc to vreg[228]
v_accvgpr_read_b32 v[vgprValuC+17], acc217 // copy acc to vreg[229]
v_accvgpr_read_b32 v[vgprValuC+18], acc233 // copy acc to vreg[230]
v_accvgpr_read_b32 v[vgprValuC+19], acc249 // copy acc to vreg[231]
v_accvgpr_read_b32 v[vgprValuC+20], acc202 // copy acc to vreg[232]
v_accvgpr_read_b32 v[vgprValuC+21], acc218 // copy acc to vreg[233]
v_accvgpr_read_b32 v[vgprValuC+22], acc234 // copy acc to vreg[234]
v_accvgpr_read_b32 v[vgprValuC+23], acc250 // copy acc to vreg[235]
v_accvgpr_read_b32 v[vgprValuC+24], acc203 // copy acc to vreg[236]
v_accvgpr_read_b32 v[vgprValuC+25], acc219 // copy acc to vreg[237]
v_accvgpr_read_b32 v[vgprValuC+26], acc235 // copy acc to vreg[238]
v_accvgpr_read_b32 v[vgprValuC+27], acc251 // copy acc to vreg[239]
v_accvgpr_read_b32 v[vgprValuC+28], acc204 // copy acc to vreg[240]
v_accvgpr_read_b32 v[vgprValuC+29], acc220 // copy acc to vreg[241]
v_accvgpr_read_b32 v[vgprValuC+30], acc236 // copy acc to vreg[242]
v_accvgpr_read_b32 v[vgprValuC+31], acc252 // copy acc to vreg[243]
v_accvgpr_read_b32 v[vgprValuC+32], acc205 // copy acc to vreg[244]
v_accvgpr_read_b32 v[vgprValuC+33], acc221 // copy acc to vreg[245]
v_accvgpr_read_b32 v[vgprValuC+34], acc237 // copy acc to vreg[246]
v_accvgpr_read_b32 v[vgprValuC+35], acc253 // copy acc to vreg[247]
v_accvgpr_read_b32 v[vgprValuC+36], acc206 // copy acc to vreg[248]
v_accvgpr_read_b32 v[vgprValuC+37], acc222 // copy acc to vreg[249]
v_accvgpr_read_b32 v[vgprValuC+38], acc238 // copy acc to vreg[250]
v_accvgpr_read_b32 v[vgprValuC+39], acc254 // copy acc to vreg[251]
v_accvgpr_read_b32 v[vgprValuC+40], acc207 // copy acc to vreg[252]
v_accvgpr_read_b32 v[vgprValuC+41], acc223 // copy acc to vreg[253]
v_accvgpr_read_b32 v[vgprValuC+42], acc239 // copy acc to vreg[254]
v_accvgpr_read_b32 v[vgprValuC+43], acc255 // copy acc to vreg[255]
s_nop 1                                            // 2 wait states required before reading vgpr

/* apply mask, calc new C and issue writes */
v_mov_b32 v7, 0xffff0000                           // mask for pack two bfloat16 element to 32bit
v_mov_b32 v8, 0x7fff0000                           // fp32 Nan
v_mov_b32 v9, 0x7fff                               // rounding bias for bfloat16
v_cmp_u_f32 s[54:55], v[vgprValuC+12], v[vgprValuC+12] // check Nan
v_bfe_u32 v6, v[vgprValuC+12], 16, 1               // Non-Nan case: store lsb of bf16
v_add3_u32 v6, v[vgprValuC+12], v6, v9             // Non-Nan case: add lsb and the increment for rounding
v_cndmask_b32 v[vgprValuC+12], v6, v8, s[54:55]    // 
v_lshrrev_b32 v[vgprValuC+12], 16, v[vgprValuC+12] // convert C to bf16
v_cmp_u_f32 s[54:55], v[vgprValuC+13], v[vgprValuC+13] // check Nan
v_bfe_u32 v6, v[vgprValuC+13], 16, 1               // Non-Nan case: store lsb of bf16
v_add3_u32 v6, v[vgprValuC+13], v6, v9             // Non-Nan case: add lsb and the increment for rounding
v_cndmask_b32 v[vgprValuC+13], v6, v8, s[54:55]    // 
v_and_or_b32 v12, v[vgprValuC+13], v7, v[vgprValuC+12] // pack two bf16 to dword
v_cmp_u_f32 s[54:55], v[vgprValuC+14], v[vgprValuC+14] // check Nan
v_bfe_u32 v6, v[vgprValuC+14], 16, 1               // Non-Nan case: store lsb of bf16
v_add3_u32 v6, v[vgprValuC+14], v6, v9             // Non-Nan case: add lsb and the increment for rounding
v_cndmask_b32 v[vgprValuC+14], v6, v8, s[54:55]    // 
v_lshrrev_b32 v[vgprValuC+14], 16, v[vgprValuC+14] // convert C to bf16
v_cmp_u_f32 s[54:55], v[vgprValuC+15], v[vgprValuC+15] // check Nan
v_bfe_u32 v6, v[vgprValuC+15], 16, 1               // Non-Nan case: store lsb of bf16
v_add3_u32 v6, v[vgprValuC+15], v6, v9             // Non-Nan case: add lsb and the increment for rounding
v_cndmask_b32 v[vgprValuC+15], v6, v8, s[54:55]    // 
v_and_or_b32 v14, v[vgprValuC+15], v7, v[vgprValuC+14] // pack two bf16 to dword
	;; [unrolled: 10-line block ×16, first 2 shown]
s_mul_i32 s54, s[sgprStrideD1J], 10                // scale StrideD *= numRows(5) * bpe
s_add_u32  s[sgprSrdD+0], s[sgprSrdD+0], s54       // incToNextRow: gra SRD += inc(lower)
s_addc_u32  s[sgprSrdD+1], s[sgprSrdD+1], 0        // incToNextRow: gra SRD += inc(upper)
_buffer_store_b32 v12, v10, s[sgprSrdD:sgprSrdD+3], 0, offen, offset:0 // store D
_buffer_store_b32 v14, v10, s[sgprSrdD:sgprSrdD+3], 0, offen, offset:256 // store D
s_lshl_b32  s54, s[sgprStrideD1J], 1               // incToNextRow: Scale by BPE
s_add_u32  s[sgprSrdD+0], s[sgprSrdD+0], s54       // incToNextRow: gra SRD += inc(lower)
s_addc_u32  s[sgprSrdD+1], s[sgprSrdD+1], 0        // incToNextRow: gra SRD += inc(upper)
_buffer_store_b32 v16, v10, s[sgprSrdD:sgprSrdD+3], 0, offen, offset:0 // store D
_buffer_store_b32 v18, v10, s[sgprSrdD:sgprSrdD+3], 0, offen, offset:256 // store D
s_lshl_b32  s54, s[sgprStrideD1J], 1               // incToNextRow: Scale by BPE
	;; [unrolled: 5-line block ×3, first 2 shown]
s_add_u32  s[sgprSrdD+0], s[sgprSrdD+0], s54       // incToNextRow: gra SRD += inc(lower)
s_addc_u32  s[sgprSrdD+1], s[sgprSrdD+1], 0        // incToNextRow: gra SRD += inc(upper)
_buffer_store_b32 v24, v10, s[sgprSrdD:sgprSrdD+3], 0, offen, offset:0 // store D
_buffer_store_b32 v26, v10, s[sgprSrdD:sgprSrdD+3], 0, offen, offset:256 // store D
s_mul_i32 s54, s[sgprStrideD1J], 10                // scale StrideD *= numRows(5) * bpe
s_add_u32  s[sgprSrdD+0], s[sgprSrdD+0], s54       // incToNextRow: gra SRD += inc(lower)
s_addc_u32  s[sgprSrdD+1], s[sgprSrdD+1], 0        // incToNextRow: gra SRD += inc(upper)
_buffer_store_b32 v28, v10, s[sgprSrdD:sgprSrdD+3], 0, offen, offset:0 // store D
_buffer_store_b32 v30, v10, s[sgprSrdD:sgprSrdD+3], 0, offen, offset:256 // store D
s_lshl_b32  s54, s[sgprStrideD1J], 1               // incToNextRow: Scale by BPE
s_add_u32  s[sgprSrdD+0], s[sgprSrdD+0], s54       // incToNextRow: gra SRD += inc(lower)
s_addc_u32  s[sgprSrdD+1], s[sgprSrdD+1], 0        // incToNextRow: gra SRD += inc(upper)
_buffer_store_b32 v32, v10, s[sgprSrdD:sgprSrdD+3], 0, offen, offset:0 // store D
_buffer_store_b32 v34, v10, s[sgprSrdD:sgprSrdD+3], 0, offen, offset:256 // store D
s_lshl_b32  s54, s[sgprStrideD1J], 1               // incToNextRow: Scale by BPE
s_add_u32  s[sgprSrdD+0], s[sgprSrdD+0], s54       // incToNextRow: gra SRD += inc(lower)
s_addc_u32  s[sgprSrdD+1], s[sgprSrdD+1], 0        // incToNextRow: gra SRD += inc(upper)
_buffer_store_b32 v36, v10, s[sgprSrdD:sgprSrdD+3], 0, offen, offset:0 // store D
_buffer_store_b32 v38, v10, s[sgprSrdD:sgprSrdD+3], 0, offen, offset:256 // store D
s_lshl_b32  s54, s[sgprStrideD1J], 1               // incToNextRow: Scale by BPE
s_add_u32  s[sgprSrdD+0], s[sgprSrdD+0], s54       // incToNextRow: gra SRD += inc(lower)
s_addc_u32  s[sgprSrdD+1], s[sgprSrdD+1], 0        // incToNextRow: gra SRD += inc(upper)
_buffer_store_b32 v40, v10, s[sgprSrdD:sgprSrdD+3], 0, offen, offset:0 // store D
_buffer_store_b32 v42, v10, s[sgprSrdD:sgprSrdD+3], 0, offen, offset:256 // store D
s_nop 0                                            // 1 wait state required when next inst writes vgprs held by previous dwordx4 store inst
s_branch label_GW_End_23                           // jump to end
label_GW_End_23:

s_endpgm                                           // Kernel End
OptNLL_End_17:


/******************************************/
/* Ord. NoLoadLoop - Begin                                      */
/******************************************/




/* iter 0 (last unrolled loop) */

/*  grEndMfmaIndex:0, lwStartMfmaIndex:49, lwEndMfmaIndex:49  */
/*  numMfmaForLR:13, barrierMfmaIndex:50, LocalWritePerMfma:0.210 */
/*  mfmaIndex:0  */
s_waitcnt lgkmcnt(0)                               // lgkmcnt=0 vmcnt=-1wait for prior local read local write old=0, new=0 newLW=0 newLR=0
v_mfma_f32_32x32x8_bf16 a[0+0:15+0], v[vgprValuB_X0_I0+0+0+0:vgprValuB_X0_I0+0+0+0+1], v[vgprValuA_X0_I0+0+0+0:vgprValuA_X0_I0+0+0+0+1], a[0:15]
/*  mfmaIndex:1  */
_ds_load_b128 v[vgprValuA_X2_I0+0:vgprValuA_X2_I0+0+3], v[vgprLocalReadAddrA] offset:32 // L -> Reg lro=16 swapByteOffset=0 ti=128 vIdx=0 rIdx=0 oIdx=0 buffer=2 iui=0
v_mfma_f32_32x32x8_bf16 a[16+0:31+0], v[vgprValuB_X0_I0+0+0+0:vgprValuB_X0_I0+0+0+0+1], v[vgprValuA_X0_I0+4+0+0:vgprValuA_X0_I0+4+0+0+1], a[16:31]
/*  mfmaIndex:2  */
_ds_load_b128 v[vgprValuB_X2_I0+0:vgprValuB_X2_I0+0+3], v[vgprLocalReadAddrB] offset:32 // L -> Reg lro=16 swapByteOffset=0 ti=64 vIdx=0 rIdx=0 oIdx=0 buffer=2 iui=0
v_mfma_f32_32x32x8_bf16 a[32+0:47+0], v[vgprValuB_X0_I0+0+0+0:vgprValuB_X0_I0+0+0+0+1], v[vgprValuA_X0_I0+8+0+0:vgprValuA_X0_I0+8+0+0+1], a[32:47]
/*  mfmaIndex:3  */
_ds_load_b128 v[vgprValuA_X2_I0+4:vgprValuA_X2_I0+4+3], v[vgprLocalReadAddrA] offset:96 // L -> Reg lro=16 swapByteOffset=0 ti=128 vIdx=0 rIdx=0 oIdx=0 buffer=2 iui=0
v_mfma_f32_32x32x8_bf16 a[48+0:63+0], v[vgprValuB_X0_I0+0+0+0:vgprValuB_X0_I0+0+0+0+1], v[vgprValuA_X0_I0+12+0+0:vgprValuA_X0_I0+12+0+0+1], a[48:63]
/*  mfmaIndex:4  */
_ds_load_b128 v[vgprValuA_X2_I0+8:vgprValuA_X2_I0+8+3], v[vgprLocalReadAddrA] offset:9248 // L -> Reg lro=16 swapByteOffset=0 ti=128 vIdx=1 rIdx=0 oIdx=0 buffer=2 iui=0
	;; [unrolled: 3-line block ×3, first 2 shown]
v_mfma_f32_32x32x8_bf16 a[96+0:111+0], v[vgprValuB_X0_I0+4+0+0:vgprValuB_X0_I0+4+0+0+1], v[vgprValuA_X0_I0+8+0+0:vgprValuA_X0_I0+8+0+0+1], a[96:111]
/*  mfmaIndex:6  */
_ds_load_b128 v[vgprValuB_X2_I0+4:vgprValuB_X2_I0+4+3], v[vgprLocalReadAddrB] offset:4640 // L -> Reg lro=16 swapByteOffset=0 ti=64 vIdx=1 rIdx=0 oIdx=0 buffer=2 iui=0
v_mfma_f32_32x32x8_bf16 a[80+0:95+0], v[vgprValuB_X0_I0+4+0+0:vgprValuB_X0_I0+4+0+0+1], v[vgprValuA_X0_I0+4+0+0:vgprValuA_X0_I0+4+0+0+1], a[80:95]
/*  mfmaIndex:7  */
_ds_load_b128 v[vgprValuB_X2_I0+8:vgprValuB_X2_I0+8+3], v[vgprLocalReadAddrB] offset:9248 // L -> Reg lro=16 swapByteOffset=0 ti=64 vIdx=2 rIdx=0 oIdx=0 buffer=2 iui=0
	;; [unrolled: 3-line block ×3, first 2 shown]
/* localReadsVacancy: latencyLeft 2 */
v_mfma_f32_32x32x8_bf16 a[128+0:143+0], v[vgprValuB_X0_I0+8+0+0:vgprValuB_X0_I0+8+0+0+1], v[vgprValuA_X0_I0+0+0+0:vgprValuA_X0_I0+0+0+0+1], a[128:143]
/*  mfmaIndex:9  */
/* localReadsVacancy: latencyLeft 6 */
v_mfma_f32_32x32x8_bf16 a[144+0:159+0], v[vgprValuB_X0_I0+8+0+0:vgprValuB_X0_I0+8+0+0+1], v[vgprValuA_X0_I0+4+0+0:vgprValuA_X0_I0+4+0+0+1], a[144:159]
/*  mfmaIndex:10  */
	;; [unrolled: 3-line block ×7, first 2 shown]
/* localReadsVacancy: latencyLeft 6 */
v_mfma_f32_32x32x8_bf16 a[192+0:207+0], v[vgprValuB_X0_I0+12+0+0:vgprValuB_X0_I0+12+0+0+1], v[vgprValuA_X0_I0+0+0+0:vgprValuA_X0_I0+0+0+0+1], a[192:207]
/* numPrefetchIter=0 */
/* dataAtIterA=-1 numReadsIterA=1 skipReadsIterA=1 readsPerIterA=4 */
/* dataAtIterB=-1 numReadsIterB=1 skipReadsIterB=1 readsPerIterB=4 */


/* iter 1 (last unrolled loop) */

/*  grEndMfmaIndex:0, lwStartMfmaIndex:49, lwEndMfmaIndex:49  */
/*  numMfmaForLR:13, barrierMfmaIndex:50, LocalWritePerMfma:0.210 */
/*  mfmaIndex:16  */
/* localReadsVacancy: latencyLeft 6 */
s_waitcnt lgkmcnt(8)                               // lgkmcnt=0 vmcnt=-1wait for prior local read local write old=0, new=8 newLW=0 newLR=8
v_mfma_f32_32x32x8_bf16 a[0+0:15+0], v[vgprValuB_X0_I0+0+2+0:vgprValuB_X0_I0+0+2+0+1], v[vgprValuA_X0_I0+0+2+0:vgprValuA_X0_I0+0+2+0+1], a[0:15]
/*  mfmaIndex:17  */
/* localReadsVacancy: latencyLeft 6 */
v_mfma_f32_32x32x8_bf16 a[16+0:31+0], v[vgprValuB_X0_I0+0+2+0:vgprValuB_X0_I0+0+2+0+1], v[vgprValuA_X0_I0+4+2+0:vgprValuA_X0_I0+4+2+0+1], a[16:31]
/*  mfmaIndex:18  */
/* localReadsVacancy: latencyLeft 6 */
v_mfma_f32_32x32x8_bf16 a[32+0:47+0], v[vgprValuB_X0_I0+0+2+0:vgprValuB_X0_I0+0+2+0+1], v[vgprValuA_X0_I0+8+2+0:vgprValuA_X0_I0+8+2+0+1], a[32:47]
/*  mfmaIndex:19  */
/* localReadsVacancy: latencyLeft 6 */
v_mfma_f32_32x32x8_bf16 a[48+0:63+0], v[vgprValuB_X0_I0+0+2+0:vgprValuB_X0_I0+0+2+0+1], v[vgprValuA_X0_I0+12+2+0:vgprValuA_X0_I0+12+2+0+1], a[48:63]
/*  mfmaIndex:20  */
/* localReadsVacancy: latencyLeft 6 */
v_mfma_f32_32x32x8_bf16 a[112+0:127+0], v[vgprValuB_X0_I0+4+2+0:vgprValuB_X0_I0+4+2+0+1], v[vgprValuA_X0_I0+12+2+0:vgprValuA_X0_I0+12+2+0+1], a[112:127]
/*  mfmaIndex:21  */
/* localReadsVacancy: latencyLeft 6 */
v_mfma_f32_32x32x8_bf16 a[96+0:111+0], v[vgprValuB_X0_I0+4+2+0:vgprValuB_X0_I0+4+2+0+1], v[vgprValuA_X0_I0+8+2+0:vgprValuA_X0_I0+8+2+0+1], a[96:111]
/*  mfmaIndex:22  */
/* localReadsVacancy: latencyLeft 6 */
v_mfma_f32_32x32x8_bf16 a[80+0:95+0], v[vgprValuB_X0_I0+4+2+0:vgprValuB_X0_I0+4+2+0+1], v[vgprValuA_X0_I0+4+2+0:vgprValuA_X0_I0+4+2+0+1], a[80:95]
/*  mfmaIndex:23  */
/* localReadsVacancy: latencyLeft 6 */
v_mfma_f32_32x32x8_bf16 a[64+0:79+0], v[vgprValuB_X0_I0+4+2+0:vgprValuB_X0_I0+4+2+0+1], v[vgprValuA_X0_I0+0+2+0:vgprValuA_X0_I0+0+2+0+1], a[64:79]
/*  mfmaIndex:24  */
/* localReadsVacancy: latencyLeft 6 */
v_mfma_f32_32x32x8_bf16 a[128+0:143+0], v[vgprValuB_X0_I0+8+2+0:vgprValuB_X0_I0+8+2+0+1], v[vgprValuA_X0_I0+0+2+0:vgprValuA_X0_I0+0+2+0+1], a[128:143]
/*  mfmaIndex:25  */
/* localReadsVacancy: latencyLeft 6 */
v_mfma_f32_32x32x8_bf16 a[144+0:159+0], v[vgprValuB_X0_I0+8+2+0:vgprValuB_X0_I0+8+2+0+1], v[vgprValuA_X0_I0+4+2+0:vgprValuA_X0_I0+4+2+0+1], a[144:159]
/*  mfmaIndex:26  */
/* localReadsVacancy: latencyLeft 6 */
v_mfma_f32_32x32x8_bf16 a[160+0:175+0], v[vgprValuB_X0_I0+8+2+0:vgprValuB_X0_I0+8+2+0+1], v[vgprValuA_X0_I0+8+2+0:vgprValuA_X0_I0+8+2+0+1], a[160:175]
/*  mfmaIndex:27  */
/* localReadsVacancy: latencyLeft 6 */
v_mfma_f32_32x32x8_bf16 a[176+0:191+0], v[vgprValuB_X0_I0+8+2+0:vgprValuB_X0_I0+8+2+0+1], v[vgprValuA_X0_I0+12+2+0:vgprValuA_X0_I0+12+2+0+1], a[176:191]
/*  mfmaIndex:28  */
/* localReadsVacancy: latencyLeft 6 */
v_mfma_f32_32x32x8_bf16 a[240+0:255+0], v[vgprValuB_X0_I0+12+2+0:vgprValuB_X0_I0+12+2+0+1], v[vgprValuA_X0_I0+12+2+0:vgprValuA_X0_I0+12+2+0+1], a[240:255]
/*  mfmaIndex:29  */
/* localReadsVacancy: latencyLeft 6 */
v_mfma_f32_32x32x8_bf16 a[224+0:239+0], v[vgprValuB_X0_I0+12+2+0:vgprValuB_X0_I0+12+2+0+1], v[vgprValuA_X0_I0+8+2+0:vgprValuA_X0_I0+8+2+0+1], a[224:239]
/*  mfmaIndex:30  */
/* localReadsVacancy: latencyLeft 6 */
v_mfma_f32_32x32x8_bf16 a[208+0:223+0], v[vgprValuB_X0_I0+12+2+0:vgprValuB_X0_I0+12+2+0+1], v[vgprValuA_X0_I0+4+2+0:vgprValuA_X0_I0+4+2+0+1], a[208:223]
/*  mfmaIndex:31  */
/* localReadsVacancy: latencyLeft 6 */
v_mfma_f32_32x32x8_bf16 a[192+0:207+0], v[vgprValuB_X0_I0+12+2+0:vgprValuB_X0_I0+12+2+0+1], v[vgprValuA_X0_I0+0+2+0:vgprValuA_X0_I0+0+2+0+1], a[192:207]
/* numPrefetchIter=0 */
/* dataAtIterA=-1 numReadsIterA=1 skipReadsIterA=1 readsPerIterA=4 */
/* dataAtIterB=-1 numReadsIterB=1 skipReadsIterB=1 readsPerIterB=4 */


/* iter 2 (last unrolled loop) */

/*  grEndMfmaIndex:0, lwStartMfmaIndex:49, lwEndMfmaIndex:49  */
/*  numMfmaForLR:13, barrierMfmaIndex:50, LocalWritePerMfma:0.210 */
/*  mfmaIndex:32  */
/* localReadsVacancy: latencyLeft 6 */
s_waitcnt lgkmcnt(0)                               // lgkmcnt=0 vmcnt=-1wait for prior local read local write old=0, new=0 newLW=0 newLR=0
v_mfma_f32_32x32x8_bf16 a[0+0:15+0], v[vgprValuB_X2_I0+0+0+0:vgprValuB_X2_I0+0+0+0+1], v[vgprValuA_X2_I0+0+0+0:vgprValuA_X2_I0+0+0+0+1], a[0:15]
/*  mfmaIndex:33  */
/* localReadsVacancy: latencyLeft 6 */
v_mfma_f32_32x32x8_bf16 a[16+0:31+0], v[vgprValuB_X2_I0+0+0+0:vgprValuB_X2_I0+0+0+0+1], v[vgprValuA_X2_I0+4+0+0:vgprValuA_X2_I0+4+0+0+1], a[16:31]
/*  mfmaIndex:34  */
/* localReadsVacancy: latencyLeft 6 */
	;; [unrolled: 3-line block ×15, first 2 shown]
v_mfma_f32_32x32x8_bf16 a[192+0:207+0], v[vgprValuB_X2_I0+12+0+0:vgprValuB_X2_I0+12+0+0+1], v[vgprValuA_X2_I0+0+0+0:vgprValuA_X2_I0+0+0+0+1], a[192:207]
/* numPrefetchIter=0 */
/* dataAtIterA=0 numReadsIterA=1 skipReadsIterA=0 readsPerIterA=4 */
/* dataAtIterB=0 numReadsIterB=1 skipReadsIterB=0 readsPerIterB=4 */


/* iter 3 (last unrolled loop) */

/*  grEndMfmaIndex:0, lwStartMfmaIndex:49, lwEndMfmaIndex:49  */
/*  numMfmaForLR:13, barrierMfmaIndex:50, LocalWritePerMfma:0.210 */
/*  mfmaIndex:48  */
/* 1 LDS buffer: read-sync-write */
s_waitcnt lgkmcnt(0)                               // 
s_barrier                                          // 
s_waitcnt lgkmcnt(0)                               // lgkmcnt=0 vmcnt=-1wait for prior local read local write old=0, new=0 newLW=0 newLR=0
v_mfma_f32_32x32x8_bf16 a[0+0:15+0], v[vgprValuB_X2_I0+0+2+0:vgprValuB_X2_I0+0+2+0+1], v[vgprValuA_X2_I0+0+2+0:vgprValuA_X2_I0+0+2+0+1], a[0:15]
/*  mfmaIndex:49  */
v_mfma_f32_32x32x8_bf16 a[16+0:31+0], v[vgprValuB_X2_I0+0+2+0:vgprValuB_X2_I0+0+2+0+1], v[vgprValuA_X2_I0+4+2+0:vgprValuA_X2_I0+4+2+0+1], a[16:31]
/*  mfmaIndex:50  */
	;; [unrolled: 2-line block ×15, first 2 shown]
v_mfma_f32_32x32x8_bf16 a[192+0:207+0], v[vgprValuB_X2_I0+12+2+0:vgprValuB_X2_I0+12+2+0+1], v[vgprValuA_X2_I0+0+2+0:vgprValuA_X2_I0+0+2+0+1], a[192:207]
/* numPrefetchIter=0 */
/* dataAtIterA=0 numReadsIterA=1 skipReadsIterA=0 readsPerIterA=4 */
/* dataAtIterB=0 numReadsIterB=1 skipReadsIterB=0 readsPerIterB=4 */

PrefetchGlobalLastIterEnd_5:


/******************************************/
/* Tail Loop                              */
/******************************************/


/* local write reset offsets a */


	;; [unrolled: 1-line block ×4, first 2 shown]
/* local write reset offsets b */


	;; [unrolled: 1-line block ×4, first 2 shown]
//numIterL = (((sizeL % LOCAL_DEPTHU) + LOCAL_SPLITU - 1) / LOCAL_SPLITU)
s_and_b32 s[sgprLoopCounterL], 31, s[sgprSizesSum+0] // s[sgprLoopCounterL] = s[sgprSizesSum+0] % 32
s_cmp_eq_u32 s[sgprLoopCounterL], 0x0              // numIterL == 0
s_cbranch_scc1 SkipTailLoopL_8                     // skip to end of tail loop b/c numIter==0
s_mov_b32 s[sgprOrigLoopCounter], 0                // repurpose to count each localRead increment


/* remove stagger offsets for tail loop */

s_mov_b32 s66, 3                                   // 
s_mul_hi_u32 s65, s66, s[sgprGlobalReadIncsA+0]    // 3 * GlobalReadIncs
s_mul_i32 s64, s66, s[sgprGlobalReadIncsA+0]       // 3 * GlobalReadIncs
s_mul_hi_u32 s67, s[sgprStaggerUIter], s[sgprGlobalReadIncsA+0] // StaggerUIter * GlobalReadIncs
s_mul_i32 s66, s[sgprStaggerUIter], s[sgprGlobalReadIncsA+0] // StaggerUIter * GlobalReadIncs
s_sub_u32 s64, s64, s66                            // start offset S in bytes
s_subb_u32 s65, s65, s67                           // start offset S in bytes
s_sub_u32 s64, s64, s[sgprWrapUA]                  // S - WrapU
s_subb_u32 s65, s65, s[sgprWrapUA+1]               // S - WrapU
s_add_u32 s[sgprSrdA+0], s[sgprSrdA+0], s64        // gra SRD += inc(lower)
s_addc_u32  s[sgprSrdA+1], s[sgprSrdA+1], s65      // gra SRD += inc(upper)
s_sub_u32 s[sgprShadowLimitA+0], s[sgprShadowLimitA+0], s64 // limit -= inc)
s_subb_u32 s[sgprShadowLimitA+1], s[sgprShadowLimitA+1], s65 // limit -= inc)
s_cmp_eq_u32 s[sgprShadowLimitA+1], 0              // are we within 2^32?
s_cselect_b32 s[sgprSrdA+2], s[sgprShadowLimitA+0], BufferLimitA // Move shadow to real if we are within 2^32

s_mov_b32 s66, 3                                   // 
s_mul_hi_u32 s65, s66, s[sgprGlobalReadIncsB+0]    // 3 * GlobalReadIncs
s_mul_i32 s64, s66, s[sgprGlobalReadIncsB+0]       // 3 * GlobalReadIncs
s_mul_hi_u32 s67, s[sgprStaggerUIter], s[sgprGlobalReadIncsB+0] // StaggerUIter * GlobalReadIncs
s_mul_i32 s66, s[sgprStaggerUIter], s[sgprGlobalReadIncsB+0] // StaggerUIter * GlobalReadIncs
s_sub_u32 s64, s64, s66                            // start offset S in bytes
s_subb_u32 s65, s65, s67                           // start offset S in bytes
s_sub_u32 s64, s64, s[sgprWrapUB]                  // S - WrapU
s_subb_u32 s65, s65, s[sgprWrapUB+1]               // S - WrapU
s_add_u32 s[sgprSrdB+0], s[sgprSrdB+0], s64        // gra SRD += inc(lower)
s_addc_u32  s[sgprSrdB+1], s[sgprSrdB+1], s65      // gra SRD += inc(upper)
s_sub_u32 s[sgprShadowLimitB+0], s[sgprShadowLimitB+0], s64 // limit -= inc)
s_subb_u32 s[sgprShadowLimitB+1], s[sgprShadowLimitB+1], s65 // limit -= inc)
s_cmp_eq_u32 s[sgprShadowLimitB+1], 0              // are we within 2^32?
s_cselect_b32 s[sgprSrdB+2], s[sgprShadowLimitB+0], BufferLimitB // Move shadow to real if we are within 2^32


/* Update M0 for DTLDS */


	;; [unrolled: 1-line block ×3, first 2 shown]
/* global read a */

/* g2l=0, load component 0 */
_buffer_load_d16_b16 v[vgprG2LA+0+0], v[vgprGlobalReadOffsetA+0], s[sgprSrdA:sgprSrdA+3], 0, offen offset:0 // load one buffer value
/* g2l=0, load component 1 */
_buffer_load_d16_hi_b16 v103, v[vgprGlobalReadOffsetA+0], s[sgprSrdA:sgprSrdA+3], 0, offen offset:2 // load one buffer value
s_waitcnt vmcnt(0)
v_or_b32 v[vgprG2LA+0+0], v[vgprG2LA+0+0], v103 // HasEccHalf: pack
/* g2l=0, load component 2 */
_buffer_load_d16_b16 v[vgprG2LA+0+1], v[vgprGlobalReadOffsetA+0], s[sgprSrdA:sgprSrdA+3], 0, offen offset:4 // load one buffer value
/* g2l=0, load component 3 */
_buffer_load_d16_hi_b16 v103, v[vgprGlobalReadOffsetA+0], s[sgprSrdA:sgprSrdA+3], 0, offen offset:6 // load one buffer value
s_waitcnt vmcnt(0)
v_or_b32 v[vgprG2LA+0+1], v[vgprG2LA+0+1], v103 // HasEccHalf: pack
	;; [unrolled: 6-line block ×4, first 2 shown]
/* g2l=4, load component 0 */
_buffer_load_d16_b16 v[vgprG2LA+4+0], v[vgprGlobalReadOffsetA+0], s[sgprSrdA:sgprSrdA+3], s[sgprScalarGlobalReadOffsetA+0], offen offset:0 // load one buffer value
/* g2l=4, load component 1 */
_buffer_load_d16_hi_b16 v103, v[vgprGlobalReadOffsetA+0], s[sgprSrdA:sgprSrdA+3], s[sgprScalarGlobalReadOffsetA+0], offen offset:2 // load one buffer value
s_waitcnt vmcnt(0)
v_or_b32 v[vgprG2LA+4+0], v[vgprG2LA+4+0], v103 // HasEccHalf: pack
/* g2l=4, load component 2 */
_buffer_load_d16_b16 v[vgprG2LA+4+1], v[vgprGlobalReadOffsetA+0], s[sgprSrdA:sgprSrdA+3], s[sgprScalarGlobalReadOffsetA+0], offen offset:4 // load one buffer value
/* g2l=4, load component 3 */
_buffer_load_d16_hi_b16 v103, v[vgprGlobalReadOffsetA+0], s[sgprSrdA:sgprSrdA+3], s[sgprScalarGlobalReadOffsetA+0], offen offset:6 // load one buffer value
s_waitcnt vmcnt(0)
v_or_b32 v[vgprG2LA+4+1], v[vgprG2LA+4+1], v103 // HasEccHalf: pack
	;; [unrolled: 6-line block ×12, first 2 shown]


/* Update M0 for DTLDS */


	;; [unrolled: 1-line block ×3, first 2 shown]
/* global read b */

/* g2l=0, load component 0 */
_buffer_load_d16_b16 v[vgprG2LB+0+0], v[vgprGlobalReadOffsetB+0], s[sgprSrdB:sgprSrdB+3], 0, offen offset:0 // load one buffer value
/* g2l=0, load component 1 */
_buffer_load_d16_hi_b16 v103, v[vgprGlobalReadOffsetB+0], s[sgprSrdB:sgprSrdB+3], 0, offen offset:2 // load one buffer value
s_waitcnt vmcnt(0)
v_or_b32 v[vgprG2LB+0+0], v[vgprG2LB+0+0], v103 // HasEccHalf: pack
/* g2l=0, load component 2 */
_buffer_load_d16_b16 v[vgprG2LB+0+1], v[vgprGlobalReadOffsetB+0], s[sgprSrdB:sgprSrdB+3], 0, offen offset:4 // load one buffer value
/* g2l=0, load component 3 */
_buffer_load_d16_hi_b16 v103, v[vgprGlobalReadOffsetB+0], s[sgprSrdB:sgprSrdB+3], 0, offen offset:6 // load one buffer value
s_waitcnt vmcnt(0)
v_or_b32 v[vgprG2LB+0+1], v[vgprG2LB+0+1], v103 // HasEccHalf: pack
	;; [unrolled: 6-line block ×4, first 2 shown]
/* g2l=4, load component 0 */
_buffer_load_d16_b16 v[vgprG2LB+4+0], v[vgprGlobalReadOffsetB+0], s[sgprSrdB:sgprSrdB+3], s[sgprScalarGlobalReadOffsetB+0], offen offset:0 // load one buffer value
/* g2l=4, load component 1 */
_buffer_load_d16_hi_b16 v103, v[vgprGlobalReadOffsetB+0], s[sgprSrdB:sgprSrdB+3], s[sgprScalarGlobalReadOffsetB+0], offen offset:2 // load one buffer value
s_waitcnt vmcnt(0)
v_or_b32 v[vgprG2LB+4+0], v[vgprG2LB+4+0], v103 // HasEccHalf: pack
/* g2l=4, load component 2 */
_buffer_load_d16_b16 v[vgprG2LB+4+1], v[vgprGlobalReadOffsetB+0], s[sgprSrdB:sgprSrdB+3], s[sgprScalarGlobalReadOffsetB+0], offen offset:4 // load one buffer value
/* g2l=4, load component 3 */
_buffer_load_d16_hi_b16 v103, v[vgprGlobalReadOffsetB+0], s[sgprSrdB:sgprSrdB+3], s[sgprScalarGlobalReadOffsetB+0], offen offset:6 // load one buffer value
s_waitcnt vmcnt(0)
v_or_b32 v[vgprG2LB+4+1], v[vgprG2LB+4+1], v103 // HasEccHalf: pack
	;; [unrolled: 6-line block ×12, first 2 shown]

s_waitcnt vmcnt(0)                                 // lgkmcnt=-1 vmcnt=02wait for global read

// Skip force waitcnt0
s_barrier //


/* Done global A/B reads */


	;; [unrolled: 1-line block ×4, first 2 shown]
/* local write a */

_ds_store_b128 v[vgprLocalWriteAddrA], v[vgprG2LA+0:vgprG2LA+0+3] offset:0 // lwoA_0_0_0_0 = (0*LSCA)*(MT0I+PAD) + (0*LSPA) = 0
_ds_store_b128 v[vgprLocalWriteAddrA], v[vgprG2LA+4:vgprG2LA+4+3] offset:1152 // lwoA_0_0_1_0 = (0*LSCA)*(MT0I+PAD) + (1*LSPA) = 1152
_ds_store_b128 v[vgprLocalWriteAddrA], v[vgprG2LA+8:vgprG2LA+8+3] offset:2304 // lwoA_0_0_2_0 = (0*LSCA)*(MT0I+PAD) + (2*LSPA) = 2304
_ds_store_b128 v[vgprLocalWriteAddrA], v[vgprG2LA+12:vgprG2LA+12+3] offset:3456 // lwoA_0_0_3_0 = (0*LSCA)*(MT0I+PAD) + (3*LSPA) = 3456


/* local write b */

_ds_store_b128 v[vgprLocalWriteAddrB], v[vgprG2LB+0:vgprG2LB+0+3] offset:0 // lwoB_0_0_0_0 = (0*LSCB)*(MT1J+PAD) + (0*LSPB) = 0
_ds_store_b128 v[vgprLocalWriteAddrB], v[vgprG2LB+4:vgprG2LB+4+3] offset:4608 // lwoB_0_0_1_0 = (0*LSCB)*(MT1J+PAD) + (1*LSPB) = 4608
_ds_store_b128 v[vgprLocalWriteAddrB], v[vgprG2LB+8:vgprG2LB+8+3] offset:9216 // lwoB_0_0_2_0 = (0*LSCB)*(MT1J+PAD) + (2*LSPB) = 9216
_ds_store_b128 v[vgprLocalWriteAddrB], v[vgprG2LB+12:vgprG2LB+12+3] offset:13824 // lwoB_0_0_3_0 = (0*LSCB)*(MT1J+PAD) + (3*LSPB) = 13824


/* Recalc local read offsets */

/*lr0I*/
v_and_b32 v104, 63, v[vgprSerial]                  // 0. thread id in wave: wtid = tid % wavelength(64)
v_and_b32 v103, 31, v104                           // 1. N offset: nIdx = wtid % MI_N(32)
v_lshlrev_b32 v103, 0x5, v103                      // 1. N offset: nOffset = nIdx * nStride(32)
                                                   // 2. block offset: bnIdx = bnIdx % num1DBlocks(1) is 0. do nothing
v_lshlrev_b32 v103, 0x1, v103                      // 4. apply VectorWidth: bnOffset = bnOffset * vw(2)
v_lshrrev_b32 v104, 5, v104                        // 5. K offset: kIdx = wtid / (MIN(32) * MIBB(1))
v_lshlrev_b32 v104, 0x2, v104                      // 5. K offset: lrKOffset = kIdx * mStride(4)
_v_add_u32 v103, v104, v103                        // 6. offset in wave: lrOffset = bnOffset + lrKOffset
v_lshrrev_b32 v105, 6, v[vgprSerial]               // 7. wave offset in N dimen: wtid = tid / dividedForWaveId(64)
v_and_b32 v104, 1, v105                            // 7. wave offset in M dimen: wtid0 = wtid / num1DWaves(2)
v_lshlrev_b32 v104, 0xb, v104                      // 7. wave offset in M dimen: wOffset = wtid0 * W0Stride(2048)
_v_add_u32 v103, v104, v103                        // 8. final local read offset: flrOffset = lrOffset + WOffset
/*lr1J*/
v_and_b32 v105, 63, v[vgprSerial]                  // 0. thread id in wave: wtid = tid % wavelength(64)
v_and_b32 v104, 31, v105                           // 1. N offset: nIdx = wtid % MI_N(32)
v_lshlrev_b32 v104, 0x5, v104                      // 1. N offset: nOffset = nIdx * nStride(32)
                                                   // 2. block offset: bnIdx = bnIdx % num1DBlocks(1) is 0. do nothing
                                                   // 4. apply VectorWidth: bnOffset = bnOffset * vw(1) (multiplier is 1, do nothing)
v_lshrrev_b32 v105, 5, v105                        // 5. K offset: kIdx = wtid / (MIN(32) * MIBB(1))
v_lshlrev_b32 v105, 0x2, v105                      // 5. K offset: lrKOffset = kIdx * mStride(4)
_v_add_u32 v104, v105, v104                        // 6. offset in wave: lrOffset = bnOffset + lrKOffset
v_lshrrev_b32 v106, 7, v[vgprSerial]               // 7. wave offset in N dimen: wtid = tid / dividedForWaveId(128)
v_and_b32 v105, 1, v106                            // 7. wave offset in M dimen: wtid0 = wtid / num1DWaves(2)
v_lshlrev_b32 v105, 0xa, v105                      // 7. wave offset in M dimen: wOffset = wtid0 * W0Stride(1024)
_v_add_u32 v104, v105, v104                        // 8. final local read offset: flrOffset = lrOffset + WOffset
v_lshlrev_b32 v[vgprLocalReadAddrA], 0x1, v103     // Final Offset: offset = (lro0)*bpe
v_lshrrev_b32 v103, 7, v[vgprLocalReadAddrA]       // Final Offset: padding 8 per block 128
v_lshlrev_b32 v103, 0x4, v103                      // Final Offset: padding 8 per block 128
_v_add_u32 v[vgprLocalReadAddrA], v103, v[vgprLocalReadAddrA] // Final Offset: add padding 8 per block 128
/* N/A */
v_lshlrev_b32 v[vgprLocalReadAddrB], 0x1, v104     // Final Offset: offset = (lro1)*bpe
v_lshrrev_b32 v103, 7, v[vgprLocalReadAddrB]       // Final Offset: padding 8 per block 128
v_lshlrev_b32 v103, 0x4, v103                      // Final Offset: padding 8 per block 128
_v_add_u32 v[vgprLocalReadAddrB], v103, v[vgprLocalReadAddrB] // Final Offset: add padding 8 per block 128
_v_add_co_u32 v[vgprLocalReadAddrB+0], vcc, 0x4800, v[vgprLocalReadAddrB+0] //  += LdsOffsetB (lower)

s_waitcnt lgkmcnt(0)                               // lgkmcnt=0 vmcnt=-15wait for local write

// Skip force waitcnt0
s_barrier //


/* local read reset offsets a */


	;; [unrolled: 1-line block ×3, first 2 shown]
/* local read reset offsets b */


	;; [unrolled: 1-line block ×3, first 2 shown]
/* local read init pointers a */


/* localReadInitPointers */


/* local read init pointers b */


/* localReadInitPointers */


/* tail loop: macs */

TailLoopBeginL_6:


/* tail loop unroll iter 0 */


/* local read a */

_ds_load_b64 v[vgprValuA_X0_I0+0:vgprValuA_X0_I0+0+1], v[vgprLocalReadAddrA] offset:0 // L -> Reg lro=0 swapByteOffset=0 ti=128 vIdx=0 rIdx=0 oIdx=0 buffer=0 iui=0
_ds_load_b64 v[vgprValuA_X0_I0+2:vgprValuA_X0_I0+2+1], v[vgprLocalReadAddrA] offset:64 // L -> Reg lro=0 swapByteOffset=0 ti=128 vIdx=0 rIdx=0 oIdx=0 buffer=0 iui=0
	;; [unrolled: 1-line block ×4, first 2 shown]


/* local read b */

_ds_load_b64 v[vgprValuB_X0_I0+0:vgprValuB_X0_I0+0+1], v[vgprLocalReadAddrB] offset:0 // L -> Reg lro=0 swapByteOffset=0 ti=64 vIdx=0 rIdx=0 oIdx=0 buffer=0 iui=0
_ds_load_b64 v[vgprValuB_X0_I0+2:vgprValuB_X0_I0+2+1], v[vgprLocalReadAddrB] offset:4608 // L -> Reg lro=0 swapByteOffset=0 ti=64 vIdx=1 rIdx=0 oIdx=0 buffer=0 iui=0
	;; [unrolled: 1-line block ×4, first 2 shown]


/* local read inc a */

s_mov_b32 s56, 0x10                                // inc
_v_add_co_u32 v[vgprLocalReadAddrA], vcc, s56, v[vgprLocalReadAddrA] // lrA += 16 (LSU*bpe)


/* local read inc b */

s_mov_b32 s56, 0x10                                // inc
_v_add_co_u32 v[vgprLocalReadAddrB], vcc, s56, v[vgprLocalReadAddrB] // lrB += 16 (LSU*bpe)

s_waitcnt lgkmcnt(0)                               // lgkmcnt=0 vmcnt=-14wait for local read


	;; [unrolled: 1-line block ×3, first 2 shown]
/* tail loop mfma iter 0: numReadsIterCoalescedA=1, numReadsIterCoalescedB=1 */
v_and_b32 v103, 63, v[vgprSerial]                  // v103 = v[vgprSerial] % 64
v_lshrrev_b32 v103, 5, v103                        // v103 = v103 / 32
v_lshlrev_b32 v103, 0x2, v103                      // v103 = v103 * 4
v_cmp_ge_i32 s[64:65], v103, s[sgprLoopCounterL]   // check K index >= Size L
v_cndmask_b32 v[vgprValuA_X0_I0+0+0+0+0], v[vgprValuA_X0_I0+0+0+0+0], 0x0, s[64:65] // set 0 if K_idx >= sizeL
v_cndmask_b32 v[vgprValuA_X0_I0+2+0+0+0], v[vgprValuA_X0_I0+2+0+0+0], 0x0, s[64:65] // set 0 if K_idx >= sizeL
	;; [unrolled: 1-line block ×4, first 2 shown]
v_cndmask_b32 v[vgprValuB_X0_I0+0+0+0+0], v[vgprValuB_X0_I0+0+0+0+0], 0x0, s[64:65] // set 0 if K_idx >= sizeL
v_cndmask_b32 v[vgprValuB_X0_I0+2+0+0+0], v[vgprValuB_X0_I0+2+0+0+0], 0x0, s[64:65] // set 0 if K_idx >= sizeL
	;; [unrolled: 1-line block ×4, first 2 shown]
v_cndmask_b32 v[vgprValuA_X0_I0+0+0+0+1], v[vgprValuA_X0_I0+0+0+0+1], 0x0, s[64:65] // set 0 if K_idx >= sizeL
v_cndmask_b32 v[vgprValuA_X0_I0+2+0+0+1], v[vgprValuA_X0_I0+2+0+0+1], 0x0, s[64:65] // set 0 if K_idx >= sizeL
	;; [unrolled: 1-line block ×4, first 2 shown]
v_cndmask_b32 v[vgprValuB_X0_I0+0+0+0+1], v[vgprValuB_X0_I0+0+0+0+1], 0x0, s[64:65] // set 0 if K_idx >= sizeL
v_cndmask_b32 v[vgprValuB_X0_I0+2+0+0+1], v[vgprValuB_X0_I0+2+0+0+1], 0x0, s[64:65] // set 0 if K_idx >= sizeL
	;; [unrolled: 1-line block ×4, first 2 shown]
_v_sub_u32 v103, s[sgprLoopCounterL], v103         // get distance between size and k index
v_cmp_lt_i32 s[64:65], v103, 4                     // set partial 0 if distance less than input per thread
s_and_b32 s66, s[sgprLoopCounterL], 3              // get inputs for edge thread
s_sub_u32 s66, 4, s66                              // use shift to fill 0 for outside element
s_lshl_b32 s66, s66, 4                             // use shift to fill 0 for outside element
v_mov_b32 v104, -1                                 // set 0xffffffff
v_mov_b32 v105, -1                                 // set 0xffffffff
v_lshrrev_b64 v[104:105], s66, v[104:105]          // rshift mask for partial k
v_cndmask_b32 v104, -1, v104, s[64:65]             // select shifted mask for partial k
v_cndmask_b32 v105, -1, v105, s[64:65]             // select shifted mask for partial k
v_and_b32 v[vgprValuA_X0_I0+0+0+0+0], v[vgprValuA_X0_I0+0+0+0+0], v104 // 
v_and_b32 v[vgprValuA_X0_I0+0+0+0+1], v[vgprValuA_X0_I0+0+0+0+1], v105 // 
	;; [unrolled: 1-line block ×8, first 2 shown]
v_and_b32 v[vgprValuB_X0_I0+0+0+0+0], v[vgprValuB_X0_I0+0+0+0+0], v104 // 
v_and_b32 v[vgprValuB_X0_I0+0+0+0+1], v[vgprValuB_X0_I0+0+0+0+1], v105 // 
	;; [unrolled: 1-line block ×8, first 2 shown]
s_nop 1
v_mfma_f32_32x32x8_bf16 a[0+0:15+0], v[vgprValuB_X0_I0+0+0+0:vgprValuB_X0_I0+0+0+0+1], v[vgprValuA_X0_I0+0+0+0:vgprValuA_X0_I0+0+0+0+1], a[0:15]
v_mfma_f32_32x32x8_bf16 a[16+0:31+0], v[vgprValuB_X0_I0+0+0+0:vgprValuB_X0_I0+0+0+0+1], v[vgprValuA_X0_I0+2+0+0:vgprValuA_X0_I0+2+0+0+1], a[16:31]
	;; [unrolled: 1-line block ×16, first 2 shown]


/* closeLoop loopL finalLoop=0 tailLoop=1 */
s_sub_i32 s[sgprLoopCounterL], s[sgprLoopCounterL], 0x8 // dec counterL (tailLoop)
s_add_u32 s[sgprOrigLoopCounter], s[sgprOrigLoopCounter], 0x8 // inc counterL
s_cmp_le_i32 s[sgprLoopCounterL], 0x0              // counterL<=0
s_cbranch_scc1 TailLoopEndL_7                      // exit LoopL


/* tail loop unroll iter 1 */


/* local read a */

_ds_load_b64 v[vgprValuA_X1_I0+0:vgprValuA_X1_I0+0+1], v[vgprLocalReadAddrA] offset:0 // L -> Reg lro=0 swapByteOffset=0 ti=128 vIdx=0 rIdx=0 oIdx=0 buffer=1 iui=0
_ds_load_b64 v[vgprValuA_X1_I0+2:vgprValuA_X1_I0+2+1], v[vgprLocalReadAddrA] offset:64 // L -> Reg lro=0 swapByteOffset=0 ti=128 vIdx=0 rIdx=0 oIdx=0 buffer=1 iui=0
	;; [unrolled: 1-line block ×4, first 2 shown]


/* local read b */

_ds_load_b64 v[vgprValuB_X1_I0+0:vgprValuB_X1_I0+0+1], v[vgprLocalReadAddrB] offset:0 // L -> Reg lro=0 swapByteOffset=0 ti=64 vIdx=0 rIdx=0 oIdx=0 buffer=1 iui=0
_ds_load_b64 v[vgprValuB_X1_I0+2:vgprValuB_X1_I0+2+1], v[vgprLocalReadAddrB] offset:4608 // L -> Reg lro=0 swapByteOffset=0 ti=64 vIdx=1 rIdx=0 oIdx=0 buffer=1 iui=0
	;; [unrolled: 1-line block ×4, first 2 shown]


/* local read inc a */

s_mov_b32 s56, 0x10                                // inc
_v_add_co_u32 v[vgprLocalReadAddrA], vcc, s56, v[vgprLocalReadAddrA] // lrA += 16 (LSU*bpe)


/* local read inc b */

s_mov_b32 s56, 0x10                                // inc
_v_add_co_u32 v[vgprLocalReadAddrB], vcc, s56, v[vgprLocalReadAddrB] // lrB += 16 (LSU*bpe)

s_waitcnt lgkmcnt(0)                               // lgkmcnt=0 vmcnt=-14wait for local read


	;; [unrolled: 1-line block ×3, first 2 shown]
/* tail loop mfma iter 1: numReadsIterCoalescedA=1, numReadsIterCoalescedB=1 */
v_and_b32 v103, 63, v[vgprSerial]                  // v103 = v[vgprSerial] % 64
v_lshrrev_b32 v103, 5, v103                        // v103 = v103 / 32
v_lshlrev_b32 v103, 0x2, v103                      // v103 = v103 * 4
v_cmp_ge_i32 s[64:65], v103, s[sgprLoopCounterL]   // check K index >= Size L
v_cndmask_b32 v[vgprValuA_X1_I0+0+0+0+0], v[vgprValuA_X1_I0+0+0+0+0], 0x0, s[64:65] // set 0 if K_idx >= sizeL
v_cndmask_b32 v[vgprValuA_X1_I0+2+0+0+0], v[vgprValuA_X1_I0+2+0+0+0], 0x0, s[64:65] // set 0 if K_idx >= sizeL
	;; [unrolled: 1-line block ×4, first 2 shown]
v_cndmask_b32 v[vgprValuB_X1_I0+0+0+0+0], v[vgprValuB_X1_I0+0+0+0+0], 0x0, s[64:65] // set 0 if K_idx >= sizeL
v_cndmask_b32 v[vgprValuB_X1_I0+2+0+0+0], v[vgprValuB_X1_I0+2+0+0+0], 0x0, s[64:65] // set 0 if K_idx >= sizeL
	;; [unrolled: 1-line block ×4, first 2 shown]
v_cndmask_b32 v[vgprValuA_X1_I0+0+0+0+1], v[vgprValuA_X1_I0+0+0+0+1], 0x0, s[64:65] // set 0 if K_idx >= sizeL
v_cndmask_b32 v[vgprValuA_X1_I0+2+0+0+1], v[vgprValuA_X1_I0+2+0+0+1], 0x0, s[64:65] // set 0 if K_idx >= sizeL
	;; [unrolled: 1-line block ×4, first 2 shown]
v_cndmask_b32 v[vgprValuB_X1_I0+0+0+0+1], v[vgprValuB_X1_I0+0+0+0+1], 0x0, s[64:65] // set 0 if K_idx >= sizeL
v_cndmask_b32 v[vgprValuB_X1_I0+2+0+0+1], v[vgprValuB_X1_I0+2+0+0+1], 0x0, s[64:65] // set 0 if K_idx >= sizeL
	;; [unrolled: 1-line block ×4, first 2 shown]
_v_sub_u32 v103, s[sgprLoopCounterL], v103         // get distance between size and k index
v_cmp_lt_i32 s[64:65], v103, 4                     // set partial 0 if distance less than input per thread
s_and_b32 s66, s[sgprLoopCounterL], 3              // get inputs for edge thread
s_sub_u32 s66, 4, s66                              // use shift to fill 0 for outside element
s_lshl_b32 s66, s66, 4                             // use shift to fill 0 for outside element
v_mov_b32 v104, -1                                 // set 0xffffffff
v_mov_b32 v105, -1                                 // set 0xffffffff
v_lshrrev_b64 v[104:105], s66, v[104:105]          // rshift mask for partial k
v_cndmask_b32 v104, -1, v104, s[64:65]             // select shifted mask for partial k
v_cndmask_b32 v105, -1, v105, s[64:65]             // select shifted mask for partial k
v_and_b32 v[vgprValuA_X1_I0+0+0+0+0], v[vgprValuA_X1_I0+0+0+0+0], v104 // 
v_and_b32 v[vgprValuA_X1_I0+0+0+0+1], v[vgprValuA_X1_I0+0+0+0+1], v105 // 
	;; [unrolled: 1-line block ×8, first 2 shown]
v_and_b32 v[vgprValuB_X1_I0+0+0+0+0], v[vgprValuB_X1_I0+0+0+0+0], v104 // 
v_and_b32 v[vgprValuB_X1_I0+0+0+0+1], v[vgprValuB_X1_I0+0+0+0+1], v105 // 
	;; [unrolled: 1-line block ×8, first 2 shown]
s_nop 1
v_mfma_f32_32x32x8_bf16 a[0+0:15+0], v[vgprValuB_X1_I0+0+0+0:vgprValuB_X1_I0+0+0+0+1], v[vgprValuA_X1_I0+0+0+0:vgprValuA_X1_I0+0+0+0+1], a[0:15]
v_mfma_f32_32x32x8_bf16 a[16+0:31+0], v[vgprValuB_X1_I0+0+0+0:vgprValuB_X1_I0+0+0+0+1], v[vgprValuA_X1_I0+2+0+0:vgprValuA_X1_I0+2+0+0+1], a[16:31]
	;; [unrolled: 1-line block ×16, first 2 shown]


/* closeLoop loopL finalLoop=0 tailLoop=1 */
s_sub_i32 s[sgprLoopCounterL], s[sgprLoopCounterL], 0x8 // dec counterL (tailLoop)
s_add_u32 s[sgprOrigLoopCounter], s[sgprOrigLoopCounter], 0x8 // inc counterL
s_cmp_le_i32 s[sgprLoopCounterL], 0x0              // counterL<=0
s_cbranch_scc1 TailLoopEndL_7                      // exit LoopL


/* tail loop unroll iter 2 */


/* local read a */

_ds_load_b64 v[vgprValuA_X2_I0+0:vgprValuA_X2_I0+0+1], v[vgprLocalReadAddrA] offset:0 // L -> Reg lro=0 swapByteOffset=0 ti=128 vIdx=0 rIdx=0 oIdx=0 buffer=2 iui=0
_ds_load_b64 v[vgprValuA_X2_I0+2:vgprValuA_X2_I0+2+1], v[vgprLocalReadAddrA] offset:64 // L -> Reg lro=0 swapByteOffset=0 ti=128 vIdx=0 rIdx=0 oIdx=0 buffer=2 iui=0
	;; [unrolled: 1-line block ×4, first 2 shown]


/* local read b */

_ds_load_b64 v[vgprValuB_X2_I0+0:vgprValuB_X2_I0+0+1], v[vgprLocalReadAddrB] offset:0 // L -> Reg lro=0 swapByteOffset=0 ti=64 vIdx=0 rIdx=0 oIdx=0 buffer=2 iui=0
_ds_load_b64 v[vgprValuB_X2_I0+2:vgprValuB_X2_I0+2+1], v[vgprLocalReadAddrB] offset:4608 // L -> Reg lro=0 swapByteOffset=0 ti=64 vIdx=1 rIdx=0 oIdx=0 buffer=2 iui=0
_ds_load_b64 v[vgprValuB_X2_I0+4:vgprValuB_X2_I0+4+1], v[vgprLocalReadAddrB] offset:9216 // L -> Reg lro=0 swapByteOffset=0 ti=64 vIdx=2 rIdx=0 oIdx=0 buffer=2 iui=0
_ds_load_b64 v[vgprValuB_X2_I0+6:vgprValuB_X2_I0+6+1], v[vgprLocalReadAddrB] offset:13824 // L -> Reg lro=0 swapByteOffset=0 ti=64 vIdx=3 rIdx=0 oIdx=0 buffer=2 iui=0


/* local read inc a */

s_mov_b32 s56, 0x10                                // inc
_v_add_co_u32 v[vgprLocalReadAddrA], vcc, s56, v[vgprLocalReadAddrA] // lrA += 16 (LSU*bpe)


/* local read inc b */

s_mov_b32 s56, 0x10                                // inc
_v_add_co_u32 v[vgprLocalReadAddrB], vcc, s56, v[vgprLocalReadAddrB] // lrB += 16 (LSU*bpe)

s_waitcnt lgkmcnt(0)                               // lgkmcnt=0 vmcnt=-14wait for local read


	;; [unrolled: 1-line block ×3, first 2 shown]
/* tail loop mfma iter 2: numReadsIterCoalescedA=1, numReadsIterCoalescedB=1 */
v_and_b32 v103, 63, v[vgprSerial]                  // v103 = v[vgprSerial] % 64
v_lshrrev_b32 v103, 5, v103                        // v103 = v103 / 32
v_lshlrev_b32 v103, 0x2, v103                      // v103 = v103 * 4
v_cmp_ge_i32 s[64:65], v103, s[sgprLoopCounterL]   // check K index >= Size L
v_cndmask_b32 v[vgprValuA_X2_I0+0+0+0+0], v[vgprValuA_X2_I0+0+0+0+0], 0x0, s[64:65] // set 0 if K_idx >= sizeL
v_cndmask_b32 v[vgprValuA_X2_I0+2+0+0+0], v[vgprValuA_X2_I0+2+0+0+0], 0x0, s[64:65] // set 0 if K_idx >= sizeL
	;; [unrolled: 1-line block ×4, first 2 shown]
v_cndmask_b32 v[vgprValuB_X2_I0+0+0+0+0], v[vgprValuB_X2_I0+0+0+0+0], 0x0, s[64:65] // set 0 if K_idx >= sizeL
v_cndmask_b32 v[vgprValuB_X2_I0+2+0+0+0], v[vgprValuB_X2_I0+2+0+0+0], 0x0, s[64:65] // set 0 if K_idx >= sizeL
	;; [unrolled: 1-line block ×4, first 2 shown]
v_cndmask_b32 v[vgprValuA_X2_I0+0+0+0+1], v[vgprValuA_X2_I0+0+0+0+1], 0x0, s[64:65] // set 0 if K_idx >= sizeL
v_cndmask_b32 v[vgprValuA_X2_I0+2+0+0+1], v[vgprValuA_X2_I0+2+0+0+1], 0x0, s[64:65] // set 0 if K_idx >= sizeL
	;; [unrolled: 1-line block ×4, first 2 shown]
v_cndmask_b32 v[vgprValuB_X2_I0+0+0+0+1], v[vgprValuB_X2_I0+0+0+0+1], 0x0, s[64:65] // set 0 if K_idx >= sizeL
v_cndmask_b32 v[vgprValuB_X2_I0+2+0+0+1], v[vgprValuB_X2_I0+2+0+0+1], 0x0, s[64:65] // set 0 if K_idx >= sizeL
	;; [unrolled: 1-line block ×4, first 2 shown]
_v_sub_u32 v103, s[sgprLoopCounterL], v103         // get distance between size and k index
v_cmp_lt_i32 s[64:65], v103, 4                     // set partial 0 if distance less than input per thread
s_and_b32 s66, s[sgprLoopCounterL], 3              // get inputs for edge thread
s_sub_u32 s66, 4, s66                              // use shift to fill 0 for outside element
s_lshl_b32 s66, s66, 4                             // use shift to fill 0 for outside element
v_mov_b32 v104, -1                                 // set 0xffffffff
v_mov_b32 v105, -1                                 // set 0xffffffff
v_lshrrev_b64 v[104:105], s66, v[104:105]          // rshift mask for partial k
v_cndmask_b32 v104, -1, v104, s[64:65]             // select shifted mask for partial k
v_cndmask_b32 v105, -1, v105, s[64:65]             // select shifted mask for partial k
v_and_b32 v[vgprValuA_X2_I0+0+0+0+0], v[vgprValuA_X2_I0+0+0+0+0], v104 // 
v_and_b32 v[vgprValuA_X2_I0+0+0+0+1], v[vgprValuA_X2_I0+0+0+0+1], v105 // 
	;; [unrolled: 1-line block ×8, first 2 shown]
v_and_b32 v[vgprValuB_X2_I0+0+0+0+0], v[vgprValuB_X2_I0+0+0+0+0], v104 // 
v_and_b32 v[vgprValuB_X2_I0+0+0+0+1], v[vgprValuB_X2_I0+0+0+0+1], v105 // 
	;; [unrolled: 1-line block ×8, first 2 shown]
s_nop 1
v_mfma_f32_32x32x8_bf16 a[0+0:15+0], v[vgprValuB_X2_I0+0+0+0:vgprValuB_X2_I0+0+0+0+1], v[vgprValuA_X2_I0+0+0+0:vgprValuA_X2_I0+0+0+0+1], a[0:15]
v_mfma_f32_32x32x8_bf16 a[16+0:31+0], v[vgprValuB_X2_I0+0+0+0:vgprValuB_X2_I0+0+0+0+1], v[vgprValuA_X2_I0+2+0+0:vgprValuA_X2_I0+2+0+0+1], a[16:31]
	;; [unrolled: 1-line block ×16, first 2 shown]


/* closeLoop loopL finalLoop=0 tailLoop=1 */
s_sub_i32 s[sgprLoopCounterL], s[sgprLoopCounterL], 0x8 // dec counterL (tailLoop)
s_add_u32 s[sgprOrigLoopCounter], s[sgprOrigLoopCounter], 0x8 // inc counterL
s_cmp_le_i32 s[sgprLoopCounterL], 0x0              // counterL<=0
s_cbranch_scc1 TailLoopEndL_7                      // exit LoopL


/* tail loop unroll iter 3 */


/* local read a */

_ds_load_b64 v[vgprValuA_X3_I0+0:vgprValuA_X3_I0+0+1], v[vgprLocalReadAddrA] offset:0 // L -> Reg lro=0 swapByteOffset=0 ti=128 vIdx=0 rIdx=0 oIdx=0 buffer=3 iui=0
_ds_load_b64 v[vgprValuA_X3_I0+2:vgprValuA_X3_I0+2+1], v[vgprLocalReadAddrA] offset:64 // L -> Reg lro=0 swapByteOffset=0 ti=128 vIdx=0 rIdx=0 oIdx=0 buffer=3 iui=0
	;; [unrolled: 1-line block ×4, first 2 shown]


/* local read b */

_ds_load_b64 v[vgprValuB_X3_I0+0:vgprValuB_X3_I0+0+1], v[vgprLocalReadAddrB] offset:0 // L -> Reg lro=0 swapByteOffset=0 ti=64 vIdx=0 rIdx=0 oIdx=0 buffer=3 iui=0
_ds_load_b64 v[vgprValuB_X3_I0+2:vgprValuB_X3_I0+2+1], v[vgprLocalReadAddrB] offset:4608 // L -> Reg lro=0 swapByteOffset=0 ti=64 vIdx=1 rIdx=0 oIdx=0 buffer=3 iui=0
	;; [unrolled: 1-line block ×4, first 2 shown]


/* local read inc a */

s_mov_b32 s56, 0x10                                // inc
_v_add_co_u32 v[vgprLocalReadAddrA], vcc, s56, v[vgprLocalReadAddrA] // lrA += 16 (LSU*bpe)


/* local read inc b */

s_mov_b32 s56, 0x10                                // inc
_v_add_co_u32 v[vgprLocalReadAddrB], vcc, s56, v[vgprLocalReadAddrB] // lrB += 16 (LSU*bpe)

s_waitcnt lgkmcnt(0)                               // lgkmcnt=0 vmcnt=-14wait for local read


	;; [unrolled: 1-line block ×3, first 2 shown]
/* tail loop mfma iter 3: numReadsIterCoalescedA=1, numReadsIterCoalescedB=1 */
v_and_b32 v103, 63, v[vgprSerial]                  // v103 = v[vgprSerial] % 64
v_lshrrev_b32 v103, 5, v103                        // v103 = v103 / 32
v_lshlrev_b32 v103, 0x2, v103                      // v103 = v103 * 4
v_cmp_ge_i32 s[64:65], v103, s[sgprLoopCounterL]   // check K index >= Size L
v_cndmask_b32 v[vgprValuA_X3_I0+0+0+0+0], v[vgprValuA_X3_I0+0+0+0+0], 0x0, s[64:65] // set 0 if K_idx >= sizeL
v_cndmask_b32 v[vgprValuA_X3_I0+2+0+0+0], v[vgprValuA_X3_I0+2+0+0+0], 0x0, s[64:65] // set 0 if K_idx >= sizeL
	;; [unrolled: 1-line block ×4, first 2 shown]
v_cndmask_b32 v[vgprValuB_X3_I0+0+0+0+0], v[vgprValuB_X3_I0+0+0+0+0], 0x0, s[64:65] // set 0 if K_idx >= sizeL
v_cndmask_b32 v[vgprValuB_X3_I0+2+0+0+0], v[vgprValuB_X3_I0+2+0+0+0], 0x0, s[64:65] // set 0 if K_idx >= sizeL
	;; [unrolled: 1-line block ×4, first 2 shown]
v_cndmask_b32 v[vgprValuA_X3_I0+0+0+0+1], v[vgprValuA_X3_I0+0+0+0+1], 0x0, s[64:65] // set 0 if K_idx >= sizeL
v_cndmask_b32 v[vgprValuA_X3_I0+2+0+0+1], v[vgprValuA_X3_I0+2+0+0+1], 0x0, s[64:65] // set 0 if K_idx >= sizeL
	;; [unrolled: 1-line block ×4, first 2 shown]
v_cndmask_b32 v[vgprValuB_X3_I0+0+0+0+1], v[vgprValuB_X3_I0+0+0+0+1], 0x0, s[64:65] // set 0 if K_idx >= sizeL
v_cndmask_b32 v[vgprValuB_X3_I0+2+0+0+1], v[vgprValuB_X3_I0+2+0+0+1], 0x0, s[64:65] // set 0 if K_idx >= sizeL
	;; [unrolled: 1-line block ×4, first 2 shown]
_v_sub_u32 v103, s[sgprLoopCounterL], v103         // get distance between size and k index
v_cmp_lt_i32 s[64:65], v103, 4                     // set partial 0 if distance less than input per thread
s_and_b32 s66, s[sgprLoopCounterL], 3              // get inputs for edge thread
s_sub_u32 s66, 4, s66                              // use shift to fill 0 for outside element
s_lshl_b32 s66, s66, 4                             // use shift to fill 0 for outside element
v_mov_b32 v104, -1                                 // set 0xffffffff
v_mov_b32 v105, -1                                 // set 0xffffffff
v_lshrrev_b64 v[104:105], s66, v[104:105]          // rshift mask for partial k
v_cndmask_b32 v104, -1, v104, s[64:65]             // select shifted mask for partial k
v_cndmask_b32 v105, -1, v105, s[64:65]             // select shifted mask for partial k
v_and_b32 v[vgprValuA_X3_I0+0+0+0+0], v[vgprValuA_X3_I0+0+0+0+0], v104 // 
v_and_b32 v[vgprValuA_X3_I0+0+0+0+1], v[vgprValuA_X3_I0+0+0+0+1], v105 // 
	;; [unrolled: 1-line block ×8, first 2 shown]
v_and_b32 v[vgprValuB_X3_I0+0+0+0+0], v[vgprValuB_X3_I0+0+0+0+0], v104 // 
v_and_b32 v[vgprValuB_X3_I0+0+0+0+1], v[vgprValuB_X3_I0+0+0+0+1], v105 // 
	;; [unrolled: 1-line block ×8, first 2 shown]
s_nop 1
v_mfma_f32_32x32x8_bf16 a[0+0:15+0], v[vgprValuB_X3_I0+0+0+0:vgprValuB_X3_I0+0+0+0+1], v[vgprValuA_X3_I0+0+0+0:vgprValuA_X3_I0+0+0+0+1], a[0:15]
v_mfma_f32_32x32x8_bf16 a[16+0:31+0], v[vgprValuB_X3_I0+0+0+0:vgprValuB_X3_I0+0+0+0+1], v[vgprValuA_X3_I0+2+0+0:vgprValuA_X3_I0+2+0+0+1], a[16:31]
v_mfma_f32_32x32x8_bf16 a[32+0:47+0], v[vgprValuB_X3_I0+0+0+0:vgprValuB_X3_I0+0+0+0+1], v[vgprValuA_X3_I0+4+0+0:vgprValuA_X3_I0+4+0+0+1], a[32:47]
v_mfma_f32_32x32x8_bf16 a[48+0:63+0], v[vgprValuB_X3_I0+0+0+0:vgprValuB_X3_I0+0+0+0+1], v[vgprValuA_X3_I0+6+0+0:vgprValuA_X3_I0+6+0+0+1], a[48:63]
v_mfma_f32_32x32x8_bf16 a[112+0:127+0], v[vgprValuB_X3_I0+2+0+0:vgprValuB_X3_I0+2+0+0+1], v[vgprValuA_X3_I0+6+0+0:vgprValuA_X3_I0+6+0+0+1], a[112:127]
v_mfma_f32_32x32x8_bf16 a[96+0:111+0], v[vgprValuB_X3_I0+2+0+0:vgprValuB_X3_I0+2+0+0+1], v[vgprValuA_X3_I0+4+0+0:vgprValuA_X3_I0+4+0+0+1], a[96:111]
v_mfma_f32_32x32x8_bf16 a[80+0:95+0], v[vgprValuB_X3_I0+2+0+0:vgprValuB_X3_I0+2+0+0+1], v[vgprValuA_X3_I0+2+0+0:vgprValuA_X3_I0+2+0+0+1], a[80:95]
v_mfma_f32_32x32x8_bf16 a[64+0:79+0], v[vgprValuB_X3_I0+2+0+0:vgprValuB_X3_I0+2+0+0+1], v[vgprValuA_X3_I0+0+0+0:vgprValuA_X3_I0+0+0+0+1], a[64:79]
v_mfma_f32_32x32x8_bf16 a[128+0:143+0], v[vgprValuB_X3_I0+4+0+0:vgprValuB_X3_I0+4+0+0+1], v[vgprValuA_X3_I0+0+0+0:vgprValuA_X3_I0+0+0+0+1], a[128:143]
v_mfma_f32_32x32x8_bf16 a[144+0:159+0], v[vgprValuB_X3_I0+4+0+0:vgprValuB_X3_I0+4+0+0+1], v[vgprValuA_X3_I0+2+0+0:vgprValuA_X3_I0+2+0+0+1], a[144:159]
v_mfma_f32_32x32x8_bf16 a[160+0:175+0], v[vgprValuB_X3_I0+4+0+0:vgprValuB_X3_I0+4+0+0+1], v[vgprValuA_X3_I0+4+0+0:vgprValuA_X3_I0+4+0+0+1], a[160:175]
v_mfma_f32_32x32x8_bf16 a[176+0:191+0], v[vgprValuB_X3_I0+4+0+0:vgprValuB_X3_I0+4+0+0+1], v[vgprValuA_X3_I0+6+0+0:vgprValuA_X3_I0+6+0+0+1], a[176:191]
v_mfma_f32_32x32x8_bf16 a[240+0:255+0], v[vgprValuB_X3_I0+6+0+0:vgprValuB_X3_I0+6+0+0+1], v[vgprValuA_X3_I0+6+0+0:vgprValuA_X3_I0+6+0+0+1], a[240:255]
v_mfma_f32_32x32x8_bf16 a[224+0:239+0], v[vgprValuB_X3_I0+6+0+0:vgprValuB_X3_I0+6+0+0+1], v[vgprValuA_X3_I0+4+0+0:vgprValuA_X3_I0+4+0+0+1], a[224:239]
v_mfma_f32_32x32x8_bf16 a[208+0:223+0], v[vgprValuB_X3_I0+6+0+0:vgprValuB_X3_I0+6+0+0+1], v[vgprValuA_X3_I0+2+0+0:vgprValuA_X3_I0+2+0+0+1], a[208:223]
v_mfma_f32_32x32x8_bf16 a[192+0:207+0], v[vgprValuB_X3_I0+6+0+0:vgprValuB_X3_I0+6+0+0+1], v[vgprValuA_X3_I0+0+0+0:vgprValuA_X3_I0+0+0+0+1], a[192:207]


/* closeLoop loopL finalLoop=1 tailLoop=1 */
s_sub_i32 s[sgprLoopCounterL], s[sgprLoopCounterL], 0x8 // dec counterL (tailLoop)
s_add_u32 s[sgprOrigLoopCounter], s[sgprOrigLoopCounter], 0x8 // inc counterL
s_cmp_le_i32 s[sgprLoopCounterL], 0x0              // counterL<=0
s_cbranch_scc0 TailLoopBeginL_6                    // restart LoopL
TailLoopEndL_7:

SkipTailLoopL_8:

Summation_End_30:
/* endSummation: add vgpr [0...100) to pool */
.set NumFullBlocks, UNDEF
.set WgmRemainder1, UNDEF
.set MagicNumberWgmRemainder1, UNDEF
.set ScalarGlobalReadOffsetA, UNDEF
.set ScalarGlobalReadOffsetB, UNDEF

/* Mapping of Acc register -> C Vgpr register */


	;; [unrolled: 1-line block ×3, first 2 shown]
/* not-LocalSplitU: global write indices */

/* computeStoreVgprs */
v_lshrrev_b32 v4, 6, v[vgprSerial]                 // v4 = v[vgprSerial] / 64
v_and_b32 v1, 63, v[vgprSerial]                    // v1 = v[vgprSerial] % 64
v_lshrrev_b32 v1, 5, v1                            // v1 = v1 / 32
v_lshlrev_b32 v1, 0x2, v1                          // thread0 * continuous_output
v_lshrrev_b32 v5, 1, v4                            // v5 = v4 / 2
v_mul_lo_u32 v5, 0x20, v5                          // wave coordination offset 1
_v_add_lshl_u32 v1, v5, v1, 0                      // coordination 1 = vwb *(wave_id1 + tid1)
v_mul_lo_u32 v2, v1, s[sgprStrideC1J]              //  offset 1
v_mul_lo_u32 v3, v1, s[sgprStrideD1J]              //  offset 1
v_and_b32 v5, 1, v4                                // v5 = v4 % 2
v_mul_lo_u32 v5, 0x20, v5                          // wave coordination offset 0
v_and_b32 v0, 31, v[vgprSerial]                    // v0 = v[vgprSerial] % 32
_v_add_lshl_u32 v0, v5, v0, 1                      // coordination 0 = vwa *(wave_id0 + tid0)
s_mul_i32 s53, 256, s[sgprWorkGroup0]              // wgp0 * MT0
_v_add_u32 v0, s53, v0                             // coord 0 = (tid0/MI_m)*4 + waveG0*MIB_m + MT0*SG0
s_mul_i32 s53, 256, s[sgprWorkGroup1]              // wgp1 * MT1
_v_add_u32 v1, s53, v1                             // coord 1 = (tid0%MI_m) + waveG1*MIB_n + MT1*SG1


/* not-LocalSplitU: global write */

s_cmpk_eq_u32 s[sgprBeta], 0x0                     // Beta == 0
s_cbranch_scc0 GW_Beta_45                          // Branch if Beta is not zero

s_and_b32 s54, 255, s[sgprSizeI]                   // s54 = s[sgprSizeI] % 256
s_add_u32 s55, -0x1, s[sgprNumWorkGroups0]         // 
s_cmp_ge_u32 s[sgprWorkGroup0], s55                // wg0 >= nwg0-1 ?
s_cselect_b32 s54, s54, 0                          // set rMT0
s_cmpk_gt_u32 s54, 0x0                             // rMT0 > 0
s_cbranch_scc1 GW_B0_E1_36                         // jump if edges required
s_and_b32 s54, 255, s[sgprSizeJ]                   // s54 = s[sgprSizeJ] % 256
s_add_u32 s55, -0x1, s[sgprNumWorkGroups1]         // 
s_cmp_ge_u32 s[sgprWorkGroup1], s55                // wg1 >= nwg1-1
s_cselect_b32 s54, s54, 0                          // set rMT1
s_cmpk_gt_u32 s54, 0x0                             // rMT1 > 0
s_cbranch_scc1 GW_B0_E1_36                         // jump if edges required
GW_B0_E0_33:

/* edge=0, allocate 2 sgpr. perBatchTmpS=2 perBatchMaskS=0 perElementMaskS=0 elementsPerBatch=16 */
/* optSingleColVgpr=1 optSharedColVgpr=0 optSGPRUsage=BufferLoad_Mask optSrdIncForRow=1 */
s_sleep 3 // optimization: sync and wait
s_barrier

/******************************************/
/* Global Write Alpha Batch #0 (d1,d0,vc1,vc0) = */
/*    (0,0,0,0:vw2); (0,1,0,0:vw2); (0,0,1,0:vw2); (0,1,1,0:vw2); (0,0,2,0:vw2); (0,1,2,0:vw2); (0,0,3,0:vw2); (0,1,3,0:vw2); (1,0,0,0:vw2); (1,1,0,0:vw2); (1,0,1,0:vw2); (1,1,1,0:vw2); (1,0,2,0:vw2); (1,1,2,0:vw2); (1,0,3,0:vw2); (1,1,3,0:vw2) */
/******************************************/

/* calc coords, apply mask, and issue loads (if necessary) */
/* (d1,vc1,d0,vc0)=(0,0,0,0) */
/* (d1,vc1,d0,vc0)=(0,0,1,0) */
	;; [unrolled: 1-line block ×16, first 2 shown]
_v_add_lshl_u32 v10, v3, v0, 0x1                   // optSingleColVgpr scaleToBpe: sharedAddrVgpr <- cinRowPtr + coord0, scaled by BPE. BSHERE:coord0=0, coord0Vgpr=0
v_accvgpr_read_b32 v[vgprValuC+12], acc0 // copy acc to vreg[0]
v_accvgpr_read_b32 v[vgprValuC+13], acc16 // copy acc to vreg[1]
v_accvgpr_read_b32 v[vgprValuC+14], acc32 // copy acc to vreg[2]
v_accvgpr_read_b32 v[vgprValuC+15], acc48 // copy acc to vreg[3]
v_accvgpr_read_b32 v[vgprValuC+16], acc1 // copy acc to vreg[4]
v_accvgpr_read_b32 v[vgprValuC+17], acc17 // copy acc to vreg[5]
v_accvgpr_read_b32 v[vgprValuC+18], acc33 // copy acc to vreg[6]
v_accvgpr_read_b32 v[vgprValuC+19], acc49 // copy acc to vreg[7]
v_accvgpr_read_b32 v[vgprValuC+20], acc2 // copy acc to vreg[8]
v_accvgpr_read_b32 v[vgprValuC+21], acc18 // copy acc to vreg[9]
v_accvgpr_read_b32 v[vgprValuC+22], acc34 // copy acc to vreg[10]
v_accvgpr_read_b32 v[vgprValuC+23], acc50 // copy acc to vreg[11]
v_accvgpr_read_b32 v[vgprValuC+24], acc3 // copy acc to vreg[12]
v_accvgpr_read_b32 v[vgprValuC+25], acc19 // copy acc to vreg[13]
v_accvgpr_read_b32 v[vgprValuC+26], acc35 // copy acc to vreg[14]
v_accvgpr_read_b32 v[vgprValuC+27], acc51 // copy acc to vreg[15]
v_accvgpr_read_b32 v[vgprValuC+28], acc4 // copy acc to vreg[16]
v_accvgpr_read_b32 v[vgprValuC+29], acc20 // copy acc to vreg[17]
v_accvgpr_read_b32 v[vgprValuC+30], acc36 // copy acc to vreg[18]
v_accvgpr_read_b32 v[vgprValuC+31], acc52 // copy acc to vreg[19]
v_accvgpr_read_b32 v[vgprValuC+32], acc5 // copy acc to vreg[20]
v_accvgpr_read_b32 v[vgprValuC+33], acc21 // copy acc to vreg[21]
v_accvgpr_read_b32 v[vgprValuC+34], acc37 // copy acc to vreg[22]
v_accvgpr_read_b32 v[vgprValuC+35], acc53 // copy acc to vreg[23]
v_accvgpr_read_b32 v[vgprValuC+36], acc6 // copy acc to vreg[24]
v_accvgpr_read_b32 v[vgprValuC+37], acc22 // copy acc to vreg[25]
v_accvgpr_read_b32 v[vgprValuC+38], acc38 // copy acc to vreg[26]
v_accvgpr_read_b32 v[vgprValuC+39], acc54 // copy acc to vreg[27]
v_accvgpr_read_b32 v[vgprValuC+40], acc7 // copy acc to vreg[28]
v_accvgpr_read_b32 v[vgprValuC+41], acc23 // copy acc to vreg[29]
v_accvgpr_read_b32 v[vgprValuC+42], acc39 // copy acc to vreg[30]
v_accvgpr_read_b32 v[vgprValuC+43], acc55 // copy acc to vreg[31]
s_nop 1                                            // 2 wait states required before reading vgpr

/* rC *= alpha batchElements=[(0, 0, 0, 0), (0, 1, 0, 0), (0, 0, 1, 0), (0, 1, 1, 0), (0, 0, 2, 0), (0, 1, 2, 0), (0, 0, 3, 0), (0, 1, 3, 0), (1, 0, 0, 0), (1, 1, 0, 0), (1, 0, 1, 0), (1, 1, 1, 0), (1, 0, 2, 0), (1, 1, 2, 0), (1, 0, 3, 0), (1, 1, 3, 0)] */
v_mul_f32 v[vgprValuC+12], s[sgprAlpha], v[vgprValuC+12] // *= alpha
v_mul_f32 v[vgprValuC+13], s[sgprAlpha], v[vgprValuC+13] // *= alpha
v_mul_f32 v[vgprValuC+14], s[sgprAlpha], v[vgprValuC+14] // *= alpha
v_mul_f32 v[vgprValuC+15], s[sgprAlpha], v[vgprValuC+15] // *= alpha
v_mul_f32 v[vgprValuC+16], s[sgprAlpha], v[vgprValuC+16] // *= alpha
v_mul_f32 v[vgprValuC+17], s[sgprAlpha], v[vgprValuC+17] // *= alpha
v_mul_f32 v[vgprValuC+18], s[sgprAlpha], v[vgprValuC+18] // *= alpha
v_mul_f32 v[vgprValuC+19], s[sgprAlpha], v[vgprValuC+19] // *= alpha
v_mul_f32 v[vgprValuC+20], s[sgprAlpha], v[vgprValuC+20] // *= alpha
v_mul_f32 v[vgprValuC+21], s[sgprAlpha], v[vgprValuC+21] // *= alpha
v_mul_f32 v[vgprValuC+22], s[sgprAlpha], v[vgprValuC+22] // *= alpha
v_mul_f32 v[vgprValuC+23], s[sgprAlpha], v[vgprValuC+23] // *= alpha
v_mul_f32 v[vgprValuC+24], s[sgprAlpha], v[vgprValuC+24] // *= alpha
v_mul_f32 v[vgprValuC+25], s[sgprAlpha], v[vgprValuC+25] // *= alpha
v_mul_f32 v[vgprValuC+26], s[sgprAlpha], v[vgprValuC+26] // *= alpha
v_mul_f32 v[vgprValuC+27], s[sgprAlpha], v[vgprValuC+27] // *= alpha
v_mul_f32 v[vgprValuC+28], s[sgprAlpha], v[vgprValuC+28] // *= alpha
v_mul_f32 v[vgprValuC+29], s[sgprAlpha], v[vgprValuC+29] // *= alpha
v_mul_f32 v[vgprValuC+30], s[sgprAlpha], v[vgprValuC+30] // *= alpha
v_mul_f32 v[vgprValuC+31], s[sgprAlpha], v[vgprValuC+31] // *= alpha
v_mul_f32 v[vgprValuC+32], s[sgprAlpha], v[vgprValuC+32] // *= alpha
v_mul_f32 v[vgprValuC+33], s[sgprAlpha], v[vgprValuC+33] // *= alpha
v_mul_f32 v[vgprValuC+34], s[sgprAlpha], v[vgprValuC+34] // *= alpha
v_mul_f32 v[vgprValuC+35], s[sgprAlpha], v[vgprValuC+35] // *= alpha
v_mul_f32 v[vgprValuC+36], s[sgprAlpha], v[vgprValuC+36] // *= alpha
v_mul_f32 v[vgprValuC+37], s[sgprAlpha], v[vgprValuC+37] // *= alpha
v_mul_f32 v[vgprValuC+38], s[sgprAlpha], v[vgprValuC+38] // *= alpha
v_mul_f32 v[vgprValuC+39], s[sgprAlpha], v[vgprValuC+39] // *= alpha
v_mul_f32 v[vgprValuC+40], s[sgprAlpha], v[vgprValuC+40] // *= alpha
v_mul_f32 v[vgprValuC+41], s[sgprAlpha], v[vgprValuC+41] // *= alpha
v_mul_f32 v[vgprValuC+42], s[sgprAlpha], v[vgprValuC+42] // *= alpha
v_mul_f32 v[vgprValuC+43], s[sgprAlpha], v[vgprValuC+43] // *= alpha

/* apply mask, calc new C and issue writes */
v_mov_b32 v7, 0xffff0000                           // mask for pack two bfloat16 element to 32bit
v_mov_b32 v8, 0x7fff0000                           // fp32 Nan
v_mov_b32 v9, 0x7fff                               // rounding bias for bfloat16
v_cmp_u_f32 s[54:55], v[vgprValuC+12], v[vgprValuC+12] // check Nan
v_bfe_u32 v6, v[vgprValuC+12], 16, 1               // Non-Nan case: store lsb of bf16
v_add3_u32 v6, v[vgprValuC+12], v6, v9             // Non-Nan case: add lsb and the increment for rounding
v_cndmask_b32 v[vgprValuC+12], v6, v8, s[54:55]    // 
v_lshrrev_b32 v[vgprValuC+12], 16, v[vgprValuC+12] // convert C to bf16
v_cmp_u_f32 s[54:55], v[vgprValuC+13], v[vgprValuC+13] // check Nan
v_bfe_u32 v6, v[vgprValuC+13], 16, 1               // Non-Nan case: store lsb of bf16
v_add3_u32 v6, v[vgprValuC+13], v6, v9             // Non-Nan case: add lsb and the increment for rounding
v_cndmask_b32 v[vgprValuC+13], v6, v8, s[54:55]    // 
v_and_or_b32 v12, v[vgprValuC+13], v7, v[vgprValuC+12] // pack two bf16 to dword
v_cmp_u_f32 s[54:55], v[vgprValuC+14], v[vgprValuC+14] // check Nan
v_bfe_u32 v6, v[vgprValuC+14], 16, 1               // Non-Nan case: store lsb of bf16
v_add3_u32 v6, v[vgprValuC+14], v6, v9             // Non-Nan case: add lsb and the increment for rounding
v_cndmask_b32 v[vgprValuC+14], v6, v8, s[54:55]    // 
v_lshrrev_b32 v[vgprValuC+14], 16, v[vgprValuC+14] // convert C to bf16
v_cmp_u_f32 s[54:55], v[vgprValuC+15], v[vgprValuC+15] // check Nan
v_bfe_u32 v6, v[vgprValuC+15], 16, 1               // Non-Nan case: store lsb of bf16
v_add3_u32 v6, v[vgprValuC+15], v6, v9             // Non-Nan case: add lsb and the increment for rounding
v_cndmask_b32 v[vgprValuC+15], v6, v8, s[54:55]    // 
v_and_or_b32 v14, v[vgprValuC+15], v7, v[vgprValuC+14] // pack two bf16 to dword
	;; [unrolled: 10-line block ×16, first 2 shown]
_buffer_store_b32 v12, v10, s[sgprSrdD:sgprSrdD+3], 0, offen, offset:0 // store D
_buffer_store_b32 v14, v10, s[sgprSrdD:sgprSrdD+3], 0, offen, offset:256 // store D
s_lshl_b32  s54, s[sgprStrideD1J], 1               // incToNextRow: Scale by BPE
s_add_u32  s[sgprSrdD+0], s[sgprSrdD+0], s54       // incToNextRow: gra SRD += inc(lower)
s_addc_u32  s[sgprSrdD+1], s[sgprSrdD+1], 0        // incToNextRow: gra SRD += inc(upper)
_buffer_store_b32 v16, v10, s[sgprSrdD:sgprSrdD+3], 0, offen, offset:0 // store D
_buffer_store_b32 v18, v10, s[sgprSrdD:sgprSrdD+3], 0, offen, offset:256 // store D
s_lshl_b32  s54, s[sgprStrideD1J], 1               // incToNextRow: Scale by BPE
s_add_u32  s[sgprSrdD+0], s[sgprSrdD+0], s54       // incToNextRow: gra SRD += inc(lower)
s_addc_u32  s[sgprSrdD+1], s[sgprSrdD+1], 0        // incToNextRow: gra SRD += inc(upper)
	;; [unrolled: 5-line block ×3, first 2 shown]
_buffer_store_b32 v24, v10, s[sgprSrdD:sgprSrdD+3], 0, offen, offset:0 // store D
_buffer_store_b32 v26, v10, s[sgprSrdD:sgprSrdD+3], 0, offen, offset:256 // store D
s_mul_i32 s54, s[sgprStrideD1J], 10                // scale StrideD *= numRows(5) * bpe
s_add_u32  s[sgprSrdD+0], s[sgprSrdD+0], s54       // incToNextRow: gra SRD += inc(lower)
s_addc_u32  s[sgprSrdD+1], s[sgprSrdD+1], 0        // incToNextRow: gra SRD += inc(upper)
_buffer_store_b32 v28, v10, s[sgprSrdD:sgprSrdD+3], 0, offen, offset:0 // store D
_buffer_store_b32 v30, v10, s[sgprSrdD:sgprSrdD+3], 0, offen, offset:256 // store D
s_lshl_b32  s54, s[sgprStrideD1J], 1               // incToNextRow: Scale by BPE
s_add_u32  s[sgprSrdD+0], s[sgprSrdD+0], s54       // incToNextRow: gra SRD += inc(lower)
s_addc_u32  s[sgprSrdD+1], s[sgprSrdD+1], 0        // incToNextRow: gra SRD += inc(upper)
_buffer_store_b32 v32, v10, s[sgprSrdD:sgprSrdD+3], 0, offen, offset:0 // store D
_buffer_store_b32 v34, v10, s[sgprSrdD:sgprSrdD+3], 0, offen, offset:256 // store D
s_lshl_b32  s54, s[sgprStrideD1J], 1               // incToNextRow: Scale by BPE
	;; [unrolled: 5-line block ×3, first 2 shown]
s_add_u32  s[sgprSrdD+0], s[sgprSrdD+0], s54       // incToNextRow: gra SRD += inc(lower)
s_addc_u32  s[sgprSrdD+1], s[sgprSrdD+1], 0        // incToNextRow: gra SRD += inc(upper)
_buffer_store_b32 v40, v10, s[sgprSrdD:sgprSrdD+3], 0, offen, offset:0 // store D
_buffer_store_b32 v42, v10, s[sgprSrdD:sgprSrdD+3], 0, offen, offset:256 // store D
s_nop 0                                            // 1 wait state required when next inst writes vgprs held by previous dwordx4 store inst
/* optSingleColVgpr=1 optSharedColVgpr=0 optSGPRUsage=BufferLoad_Mask optSrdIncForRow=1 */
s_sleep 3 // optimization: sync and wait
s_barrier

/******************************************/
/* Global Write Alpha Batch #1 (d1,d0,vc1,vc0) = */
/*    (2,0,0,0:vw2); (2,1,0,0:vw2); (2,0,1,0:vw2); (2,1,1,0:vw2); (2,0,2,0:vw2); (2,1,2,0:vw2); (2,0,3,0:vw2); (2,1,3,0:vw2); (3,0,0,0:vw2); (3,1,0,0:vw2); (3,0,1,0:vw2); (3,1,1,0:vw2); (3,0,2,0:vw2); (3,1,2,0:vw2); (3,0,3,0:vw2); (3,1,3,0:vw2) */
/******************************************/

/* calc coords, apply mask, and issue loads (if necessary) */
/* (d1,vc1,d0,vc0)=(2,0,0,0) */
/* (d1,vc1,d0,vc0)=(2,0,1,0) */
	;; [unrolled: 1-line block ×16, first 2 shown]
v_accvgpr_read_b32 v[vgprValuC+12], acc8 // copy acc to vreg[32]
v_accvgpr_read_b32 v[vgprValuC+13], acc24 // copy acc to vreg[33]
v_accvgpr_read_b32 v[vgprValuC+14], acc40 // copy acc to vreg[34]
v_accvgpr_read_b32 v[vgprValuC+15], acc56 // copy acc to vreg[35]
v_accvgpr_read_b32 v[vgprValuC+16], acc9 // copy acc to vreg[36]
v_accvgpr_read_b32 v[vgprValuC+17], acc25 // copy acc to vreg[37]
v_accvgpr_read_b32 v[vgprValuC+18], acc41 // copy acc to vreg[38]
v_accvgpr_read_b32 v[vgprValuC+19], acc57 // copy acc to vreg[39]
v_accvgpr_read_b32 v[vgprValuC+20], acc10 // copy acc to vreg[40]
v_accvgpr_read_b32 v[vgprValuC+21], acc26 // copy acc to vreg[41]
v_accvgpr_read_b32 v[vgprValuC+22], acc42 // copy acc to vreg[42]
v_accvgpr_read_b32 v[vgprValuC+23], acc58 // copy acc to vreg[43]
v_accvgpr_read_b32 v[vgprValuC+24], acc11 // copy acc to vreg[44]
v_accvgpr_read_b32 v[vgprValuC+25], acc27 // copy acc to vreg[45]
v_accvgpr_read_b32 v[vgprValuC+26], acc43 // copy acc to vreg[46]
v_accvgpr_read_b32 v[vgprValuC+27], acc59 // copy acc to vreg[47]
v_accvgpr_read_b32 v[vgprValuC+28], acc12 // copy acc to vreg[48]
v_accvgpr_read_b32 v[vgprValuC+29], acc28 // copy acc to vreg[49]
v_accvgpr_read_b32 v[vgprValuC+30], acc44 // copy acc to vreg[50]
v_accvgpr_read_b32 v[vgprValuC+31], acc60 // copy acc to vreg[51]
v_accvgpr_read_b32 v[vgprValuC+32], acc13 // copy acc to vreg[52]
v_accvgpr_read_b32 v[vgprValuC+33], acc29 // copy acc to vreg[53]
v_accvgpr_read_b32 v[vgprValuC+34], acc45 // copy acc to vreg[54]
v_accvgpr_read_b32 v[vgprValuC+35], acc61 // copy acc to vreg[55]
v_accvgpr_read_b32 v[vgprValuC+36], acc14 // copy acc to vreg[56]
v_accvgpr_read_b32 v[vgprValuC+37], acc30 // copy acc to vreg[57]
v_accvgpr_read_b32 v[vgprValuC+38], acc46 // copy acc to vreg[58]
v_accvgpr_read_b32 v[vgprValuC+39], acc62 // copy acc to vreg[59]
v_accvgpr_read_b32 v[vgprValuC+40], acc15 // copy acc to vreg[60]
v_accvgpr_read_b32 v[vgprValuC+41], acc31 // copy acc to vreg[61]
v_accvgpr_read_b32 v[vgprValuC+42], acc47 // copy acc to vreg[62]
v_accvgpr_read_b32 v[vgprValuC+43], acc63 // copy acc to vreg[63]
s_nop 1                                            // 2 wait states required before reading vgpr

/* rC *= alpha batchElements=[(2, 0, 0, 0), (2, 1, 0, 0), (2, 0, 1, 0), (2, 1, 1, 0), (2, 0, 2, 0), (2, 1, 2, 0), (2, 0, 3, 0), (2, 1, 3, 0), (3, 0, 0, 0), (3, 1, 0, 0), (3, 0, 1, 0), (3, 1, 1, 0), (3, 0, 2, 0), (3, 1, 2, 0), (3, 0, 3, 0), (3, 1, 3, 0)] */
v_mul_f32 v[vgprValuC+12], s[sgprAlpha], v[vgprValuC+12] // *= alpha
v_mul_f32 v[vgprValuC+13], s[sgprAlpha], v[vgprValuC+13] // *= alpha
	;; [unrolled: 1-line block ×32, first 2 shown]

/* apply mask, calc new C and issue writes */
v_mov_b32 v7, 0xffff0000                           // mask for pack two bfloat16 element to 32bit
v_mov_b32 v8, 0x7fff0000                           // fp32 Nan
v_mov_b32 v9, 0x7fff                               // rounding bias for bfloat16
v_cmp_u_f32 s[54:55], v[vgprValuC+12], v[vgprValuC+12] // check Nan
v_bfe_u32 v6, v[vgprValuC+12], 16, 1               // Non-Nan case: store lsb of bf16
v_add3_u32 v6, v[vgprValuC+12], v6, v9             // Non-Nan case: add lsb and the increment for rounding
v_cndmask_b32 v[vgprValuC+12], v6, v8, s[54:55]    // 
v_lshrrev_b32 v[vgprValuC+12], 16, v[vgprValuC+12] // convert C to bf16
v_cmp_u_f32 s[54:55], v[vgprValuC+13], v[vgprValuC+13] // check Nan
v_bfe_u32 v6, v[vgprValuC+13], 16, 1               // Non-Nan case: store lsb of bf16
v_add3_u32 v6, v[vgprValuC+13], v6, v9             // Non-Nan case: add lsb and the increment for rounding
v_cndmask_b32 v[vgprValuC+13], v6, v8, s[54:55]    // 
v_and_or_b32 v12, v[vgprValuC+13], v7, v[vgprValuC+12] // pack two bf16 to dword
v_cmp_u_f32 s[54:55], v[vgprValuC+14], v[vgprValuC+14] // check Nan
v_bfe_u32 v6, v[vgprValuC+14], 16, 1               // Non-Nan case: store lsb of bf16
v_add3_u32 v6, v[vgprValuC+14], v6, v9             // Non-Nan case: add lsb and the increment for rounding
v_cndmask_b32 v[vgprValuC+14], v6, v8, s[54:55]    // 
v_lshrrev_b32 v[vgprValuC+14], 16, v[vgprValuC+14] // convert C to bf16
v_cmp_u_f32 s[54:55], v[vgprValuC+15], v[vgprValuC+15] // check Nan
v_bfe_u32 v6, v[vgprValuC+15], 16, 1               // Non-Nan case: store lsb of bf16
v_add3_u32 v6, v[vgprValuC+15], v6, v9             // Non-Nan case: add lsb and the increment for rounding
v_cndmask_b32 v[vgprValuC+15], v6, v8, s[54:55]    // 
v_and_or_b32 v14, v[vgprValuC+15], v7, v[vgprValuC+14] // pack two bf16 to dword
	;; [unrolled: 10-line block ×16, first 2 shown]
s_mul_i32 s54, s[sgprStrideD1J], 10                // scale StrideD *= numRows(5) * bpe
s_add_u32  s[sgprSrdD+0], s[sgprSrdD+0], s54       // incToNextRow: gra SRD += inc(lower)
s_addc_u32  s[sgprSrdD+1], s[sgprSrdD+1], 0        // incToNextRow: gra SRD += inc(upper)
_buffer_store_b32 v12, v10, s[sgprSrdD:sgprSrdD+3], 0, offen, offset:0 // store D
_buffer_store_b32 v14, v10, s[sgprSrdD:sgprSrdD+3], 0, offen, offset:256 // store D
s_lshl_b32  s54, s[sgprStrideD1J], 1               // incToNextRow: Scale by BPE
s_add_u32  s[sgprSrdD+0], s[sgprSrdD+0], s54       // incToNextRow: gra SRD += inc(lower)
s_addc_u32  s[sgprSrdD+1], s[sgprSrdD+1], 0        // incToNextRow: gra SRD += inc(upper)
_buffer_store_b32 v16, v10, s[sgprSrdD:sgprSrdD+3], 0, offen, offset:0 // store D
_buffer_store_b32 v18, v10, s[sgprSrdD:sgprSrdD+3], 0, offen, offset:256 // store D
s_lshl_b32  s54, s[sgprStrideD1J], 1               // incToNextRow: Scale by BPE
	;; [unrolled: 5-line block ×3, first 2 shown]
s_add_u32  s[sgprSrdD+0], s[sgprSrdD+0], s54       // incToNextRow: gra SRD += inc(lower)
s_addc_u32  s[sgprSrdD+1], s[sgprSrdD+1], 0        // incToNextRow: gra SRD += inc(upper)
_buffer_store_b32 v24, v10, s[sgprSrdD:sgprSrdD+3], 0, offen, offset:0 // store D
_buffer_store_b32 v26, v10, s[sgprSrdD:sgprSrdD+3], 0, offen, offset:256 // store D
s_mul_i32 s54, s[sgprStrideD1J], 10                // scale StrideD *= numRows(5) * bpe
s_add_u32  s[sgprSrdD+0], s[sgprSrdD+0], s54       // incToNextRow: gra SRD += inc(lower)
s_addc_u32  s[sgprSrdD+1], s[sgprSrdD+1], 0        // incToNextRow: gra SRD += inc(upper)
_buffer_store_b32 v28, v10, s[sgprSrdD:sgprSrdD+3], 0, offen, offset:0 // store D
_buffer_store_b32 v30, v10, s[sgprSrdD:sgprSrdD+3], 0, offen, offset:256 // store D
s_lshl_b32  s54, s[sgprStrideD1J], 1               // incToNextRow: Scale by BPE
s_add_u32  s[sgprSrdD+0], s[sgprSrdD+0], s54       // incToNextRow: gra SRD += inc(lower)
s_addc_u32  s[sgprSrdD+1], s[sgprSrdD+1], 0        // incToNextRow: gra SRD += inc(upper)
_buffer_store_b32 v32, v10, s[sgprSrdD:sgprSrdD+3], 0, offen, offset:0 // store D
_buffer_store_b32 v34, v10, s[sgprSrdD:sgprSrdD+3], 0, offen, offset:256 // store D
s_lshl_b32  s54, s[sgprStrideD1J], 1               // incToNextRow: Scale by BPE
	;; [unrolled: 5-line block ×3, first 2 shown]
s_add_u32  s[sgprSrdD+0], s[sgprSrdD+0], s54       // incToNextRow: gra SRD += inc(lower)
s_addc_u32  s[sgprSrdD+1], s[sgprSrdD+1], 0        // incToNextRow: gra SRD += inc(upper)
_buffer_store_b32 v40, v10, s[sgprSrdD:sgprSrdD+3], 0, offen, offset:0 // store D
_buffer_store_b32 v42, v10, s[sgprSrdD:sgprSrdD+3], 0, offen, offset:256 // store D
s_nop 0                                            // 1 wait state required when next inst writes vgprs held by previous dwordx4 store inst
/* optSingleColVgpr=1 optSharedColVgpr=0 optSGPRUsage=BufferLoad_Mask optSrdIncForRow=1 */
s_sleep 3 // optimization: sync and wait
s_barrier

/******************************************/
/* Global Write Alpha Batch #2 (d1,d0,vc1,vc0) = */
/*    (4,0,0,0:vw2); (4,1,0,0:vw2); (4,0,1,0:vw2); (4,1,1,0:vw2); (4,0,2,0:vw2); (4,1,2,0:vw2); (4,0,3,0:vw2); (4,1,3,0:vw2); (5,0,0,0:vw2); (5,1,0,0:vw2); (5,0,1,0:vw2); (5,1,1,0:vw2); (5,0,2,0:vw2); (5,1,2,0:vw2); (5,0,3,0:vw2); (5,1,3,0:vw2) */
/******************************************/

/* calc coords, apply mask, and issue loads (if necessary) */
/* (d1,vc1,d0,vc0)=(4,0,0,0) */
/* (d1,vc1,d0,vc0)=(4,0,1,0) */
	;; [unrolled: 1-line block ×16, first 2 shown]
v_accvgpr_read_b32 v[vgprValuC+12], acc64 // copy acc to vreg[64]
v_accvgpr_read_b32 v[vgprValuC+13], acc80 // copy acc to vreg[65]
v_accvgpr_read_b32 v[vgprValuC+14], acc96 // copy acc to vreg[66]
v_accvgpr_read_b32 v[vgprValuC+15], acc112 // copy acc to vreg[67]
v_accvgpr_read_b32 v[vgprValuC+16], acc65 // copy acc to vreg[68]
v_accvgpr_read_b32 v[vgprValuC+17], acc81 // copy acc to vreg[69]
v_accvgpr_read_b32 v[vgprValuC+18], acc97 // copy acc to vreg[70]
v_accvgpr_read_b32 v[vgprValuC+19], acc113 // copy acc to vreg[71]
v_accvgpr_read_b32 v[vgprValuC+20], acc66 // copy acc to vreg[72]
v_accvgpr_read_b32 v[vgprValuC+21], acc82 // copy acc to vreg[73]
v_accvgpr_read_b32 v[vgprValuC+22], acc98 // copy acc to vreg[74]
v_accvgpr_read_b32 v[vgprValuC+23], acc114 // copy acc to vreg[75]
v_accvgpr_read_b32 v[vgprValuC+24], acc67 // copy acc to vreg[76]
v_accvgpr_read_b32 v[vgprValuC+25], acc83 // copy acc to vreg[77]
v_accvgpr_read_b32 v[vgprValuC+26], acc99 // copy acc to vreg[78]
v_accvgpr_read_b32 v[vgprValuC+27], acc115 // copy acc to vreg[79]
v_accvgpr_read_b32 v[vgprValuC+28], acc68 // copy acc to vreg[80]
v_accvgpr_read_b32 v[vgprValuC+29], acc84 // copy acc to vreg[81]
v_accvgpr_read_b32 v[vgprValuC+30], acc100 // copy acc to vreg[82]
v_accvgpr_read_b32 v[vgprValuC+31], acc116 // copy acc to vreg[83]
v_accvgpr_read_b32 v[vgprValuC+32], acc69 // copy acc to vreg[84]
v_accvgpr_read_b32 v[vgprValuC+33], acc85 // copy acc to vreg[85]
v_accvgpr_read_b32 v[vgprValuC+34], acc101 // copy acc to vreg[86]
v_accvgpr_read_b32 v[vgprValuC+35], acc117 // copy acc to vreg[87]
v_accvgpr_read_b32 v[vgprValuC+36], acc70 // copy acc to vreg[88]
v_accvgpr_read_b32 v[vgprValuC+37], acc86 // copy acc to vreg[89]
v_accvgpr_read_b32 v[vgprValuC+38], acc102 // copy acc to vreg[90]
v_accvgpr_read_b32 v[vgprValuC+39], acc118 // copy acc to vreg[91]
v_accvgpr_read_b32 v[vgprValuC+40], acc71 // copy acc to vreg[92]
v_accvgpr_read_b32 v[vgprValuC+41], acc87 // copy acc to vreg[93]
v_accvgpr_read_b32 v[vgprValuC+42], acc103 // copy acc to vreg[94]
v_accvgpr_read_b32 v[vgprValuC+43], acc119 // copy acc to vreg[95]
s_nop 1                                            // 2 wait states required before reading vgpr

/* rC *= alpha batchElements=[(4, 0, 0, 0), (4, 1, 0, 0), (4, 0, 1, 0), (4, 1, 1, 0), (4, 0, 2, 0), (4, 1, 2, 0), (4, 0, 3, 0), (4, 1, 3, 0), (5, 0, 0, 0), (5, 1, 0, 0), (5, 0, 1, 0), (5, 1, 1, 0), (5, 0, 2, 0), (5, 1, 2, 0), (5, 0, 3, 0), (5, 1, 3, 0)] */
v_mul_f32 v[vgprValuC+12], s[sgprAlpha], v[vgprValuC+12] // *= alpha
v_mul_f32 v[vgprValuC+13], s[sgprAlpha], v[vgprValuC+13] // *= alpha
	;; [unrolled: 1-line block ×32, first 2 shown]

/* apply mask, calc new C and issue writes */
v_mov_b32 v7, 0xffff0000                           // mask for pack two bfloat16 element to 32bit
v_mov_b32 v8, 0x7fff0000                           // fp32 Nan
v_mov_b32 v9, 0x7fff                               // rounding bias for bfloat16
v_cmp_u_f32 s[54:55], v[vgprValuC+12], v[vgprValuC+12] // check Nan
v_bfe_u32 v6, v[vgprValuC+12], 16, 1               // Non-Nan case: store lsb of bf16
v_add3_u32 v6, v[vgprValuC+12], v6, v9             // Non-Nan case: add lsb and the increment for rounding
v_cndmask_b32 v[vgprValuC+12], v6, v8, s[54:55]    // 
v_lshrrev_b32 v[vgprValuC+12], 16, v[vgprValuC+12] // convert C to bf16
v_cmp_u_f32 s[54:55], v[vgprValuC+13], v[vgprValuC+13] // check Nan
v_bfe_u32 v6, v[vgprValuC+13], 16, 1               // Non-Nan case: store lsb of bf16
v_add3_u32 v6, v[vgprValuC+13], v6, v9             // Non-Nan case: add lsb and the increment for rounding
v_cndmask_b32 v[vgprValuC+13], v6, v8, s[54:55]    // 
v_and_or_b32 v12, v[vgprValuC+13], v7, v[vgprValuC+12] // pack two bf16 to dword
v_cmp_u_f32 s[54:55], v[vgprValuC+14], v[vgprValuC+14] // check Nan
v_bfe_u32 v6, v[vgprValuC+14], 16, 1               // Non-Nan case: store lsb of bf16
v_add3_u32 v6, v[vgprValuC+14], v6, v9             // Non-Nan case: add lsb and the increment for rounding
v_cndmask_b32 v[vgprValuC+14], v6, v8, s[54:55]    // 
v_lshrrev_b32 v[vgprValuC+14], 16, v[vgprValuC+14] // convert C to bf16
v_cmp_u_f32 s[54:55], v[vgprValuC+15], v[vgprValuC+15] // check Nan
v_bfe_u32 v6, v[vgprValuC+15], 16, 1               // Non-Nan case: store lsb of bf16
v_add3_u32 v6, v[vgprValuC+15], v6, v9             // Non-Nan case: add lsb and the increment for rounding
v_cndmask_b32 v[vgprValuC+15], v6, v8, s[54:55]    // 
v_and_or_b32 v14, v[vgprValuC+15], v7, v[vgprValuC+14] // pack two bf16 to dword
	;; [unrolled: 10-line block ×16, first 2 shown]
s_mul_i32 s54, s[sgprStrideD1J], 74                // scale StrideD *= numRows(37) * bpe
s_add_u32  s[sgprSrdD+0], s[sgprSrdD+0], s54       // incToNextRow: gra SRD += inc(lower)
s_addc_u32  s[sgprSrdD+1], s[sgprSrdD+1], 0        // incToNextRow: gra SRD += inc(upper)
_buffer_store_b32 v12, v10, s[sgprSrdD:sgprSrdD+3], 0, offen, offset:0 // store D
_buffer_store_b32 v14, v10, s[sgprSrdD:sgprSrdD+3], 0, offen, offset:256 // store D
s_lshl_b32  s54, s[sgprStrideD1J], 1               // incToNextRow: Scale by BPE
s_add_u32  s[sgprSrdD+0], s[sgprSrdD+0], s54       // incToNextRow: gra SRD += inc(lower)
s_addc_u32  s[sgprSrdD+1], s[sgprSrdD+1], 0        // incToNextRow: gra SRD += inc(upper)
_buffer_store_b32 v16, v10, s[sgprSrdD:sgprSrdD+3], 0, offen, offset:0 // store D
_buffer_store_b32 v18, v10, s[sgprSrdD:sgprSrdD+3], 0, offen, offset:256 // store D
s_lshl_b32  s54, s[sgprStrideD1J], 1               // incToNextRow: Scale by BPE
	;; [unrolled: 5-line block ×3, first 2 shown]
s_add_u32  s[sgprSrdD+0], s[sgprSrdD+0], s54       // incToNextRow: gra SRD += inc(lower)
s_addc_u32  s[sgprSrdD+1], s[sgprSrdD+1], 0        // incToNextRow: gra SRD += inc(upper)
_buffer_store_b32 v24, v10, s[sgprSrdD:sgprSrdD+3], 0, offen, offset:0 // store D
_buffer_store_b32 v26, v10, s[sgprSrdD:sgprSrdD+3], 0, offen, offset:256 // store D
s_mul_i32 s54, s[sgprStrideD1J], 10                // scale StrideD *= numRows(5) * bpe
s_add_u32  s[sgprSrdD+0], s[sgprSrdD+0], s54       // incToNextRow: gra SRD += inc(lower)
s_addc_u32  s[sgprSrdD+1], s[sgprSrdD+1], 0        // incToNextRow: gra SRD += inc(upper)
_buffer_store_b32 v28, v10, s[sgprSrdD:sgprSrdD+3], 0, offen, offset:0 // store D
_buffer_store_b32 v30, v10, s[sgprSrdD:sgprSrdD+3], 0, offen, offset:256 // store D
s_lshl_b32  s54, s[sgprStrideD1J], 1               // incToNextRow: Scale by BPE
s_add_u32  s[sgprSrdD+0], s[sgprSrdD+0], s54       // incToNextRow: gra SRD += inc(lower)
s_addc_u32  s[sgprSrdD+1], s[sgprSrdD+1], 0        // incToNextRow: gra SRD += inc(upper)
_buffer_store_b32 v32, v10, s[sgprSrdD:sgprSrdD+3], 0, offen, offset:0 // store D
_buffer_store_b32 v34, v10, s[sgprSrdD:sgprSrdD+3], 0, offen, offset:256 // store D
s_lshl_b32  s54, s[sgprStrideD1J], 1               // incToNextRow: Scale by BPE
	;; [unrolled: 5-line block ×3, first 2 shown]
s_add_u32  s[sgprSrdD+0], s[sgprSrdD+0], s54       // incToNextRow: gra SRD += inc(lower)
s_addc_u32  s[sgprSrdD+1], s[sgprSrdD+1], 0        // incToNextRow: gra SRD += inc(upper)
_buffer_store_b32 v40, v10, s[sgprSrdD:sgprSrdD+3], 0, offen, offset:0 // store D
_buffer_store_b32 v42, v10, s[sgprSrdD:sgprSrdD+3], 0, offen, offset:256 // store D
s_nop 0                                            // 1 wait state required when next inst writes vgprs held by previous dwordx4 store inst
/* optSingleColVgpr=1 optSharedColVgpr=0 optSGPRUsage=BufferLoad_Mask optSrdIncForRow=1 */
s_sleep 3 // optimization: sync and wait
s_barrier

/******************************************/
/* Global Write Alpha Batch #3 (d1,d0,vc1,vc0) = */
/*    (6,0,0,0:vw2); (6,1,0,0:vw2); (6,0,1,0:vw2); (6,1,1,0:vw2); (6,0,2,0:vw2); (6,1,2,0:vw2); (6,0,3,0:vw2); (6,1,3,0:vw2); (7,0,0,0:vw2); (7,1,0,0:vw2); (7,0,1,0:vw2); (7,1,1,0:vw2); (7,0,2,0:vw2); (7,1,2,0:vw2); (7,0,3,0:vw2); (7,1,3,0:vw2) */
/******************************************/

/* calc coords, apply mask, and issue loads (if necessary) */
/* (d1,vc1,d0,vc0)=(6,0,0,0) */
/* (d1,vc1,d0,vc0)=(6,0,1,0) */
	;; [unrolled: 1-line block ×16, first 2 shown]
v_accvgpr_read_b32 v[vgprValuC+12], acc72 // copy acc to vreg[96]
v_accvgpr_read_b32 v[vgprValuC+13], acc88 // copy acc to vreg[97]
v_accvgpr_read_b32 v[vgprValuC+14], acc104 // copy acc to vreg[98]
v_accvgpr_read_b32 v[vgprValuC+15], acc120 // copy acc to vreg[99]
v_accvgpr_read_b32 v[vgprValuC+16], acc73 // copy acc to vreg[100]
v_accvgpr_read_b32 v[vgprValuC+17], acc89 // copy acc to vreg[101]
v_accvgpr_read_b32 v[vgprValuC+18], acc105 // copy acc to vreg[102]
v_accvgpr_read_b32 v[vgprValuC+19], acc121 // copy acc to vreg[103]
v_accvgpr_read_b32 v[vgprValuC+20], acc74 // copy acc to vreg[104]
v_accvgpr_read_b32 v[vgprValuC+21], acc90 // copy acc to vreg[105]
v_accvgpr_read_b32 v[vgprValuC+22], acc106 // copy acc to vreg[106]
v_accvgpr_read_b32 v[vgprValuC+23], acc122 // copy acc to vreg[107]
v_accvgpr_read_b32 v[vgprValuC+24], acc75 // copy acc to vreg[108]
v_accvgpr_read_b32 v[vgprValuC+25], acc91 // copy acc to vreg[109]
v_accvgpr_read_b32 v[vgprValuC+26], acc107 // copy acc to vreg[110]
v_accvgpr_read_b32 v[vgprValuC+27], acc123 // copy acc to vreg[111]
v_accvgpr_read_b32 v[vgprValuC+28], acc76 // copy acc to vreg[112]
v_accvgpr_read_b32 v[vgprValuC+29], acc92 // copy acc to vreg[113]
v_accvgpr_read_b32 v[vgprValuC+30], acc108 // copy acc to vreg[114]
v_accvgpr_read_b32 v[vgprValuC+31], acc124 // copy acc to vreg[115]
v_accvgpr_read_b32 v[vgprValuC+32], acc77 // copy acc to vreg[116]
v_accvgpr_read_b32 v[vgprValuC+33], acc93 // copy acc to vreg[117]
v_accvgpr_read_b32 v[vgprValuC+34], acc109 // copy acc to vreg[118]
v_accvgpr_read_b32 v[vgprValuC+35], acc125 // copy acc to vreg[119]
v_accvgpr_read_b32 v[vgprValuC+36], acc78 // copy acc to vreg[120]
v_accvgpr_read_b32 v[vgprValuC+37], acc94 // copy acc to vreg[121]
v_accvgpr_read_b32 v[vgprValuC+38], acc110 // copy acc to vreg[122]
v_accvgpr_read_b32 v[vgprValuC+39], acc126 // copy acc to vreg[123]
v_accvgpr_read_b32 v[vgprValuC+40], acc79 // copy acc to vreg[124]
v_accvgpr_read_b32 v[vgprValuC+41], acc95 // copy acc to vreg[125]
v_accvgpr_read_b32 v[vgprValuC+42], acc111 // copy acc to vreg[126]
v_accvgpr_read_b32 v[vgprValuC+43], acc127 // copy acc to vreg[127]
s_nop 1                                            // 2 wait states required before reading vgpr

/* rC *= alpha batchElements=[(6, 0, 0, 0), (6, 1, 0, 0), (6, 0, 1, 0), (6, 1, 1, 0), (6, 0, 2, 0), (6, 1, 2, 0), (6, 0, 3, 0), (6, 1, 3, 0), (7, 0, 0, 0), (7, 1, 0, 0), (7, 0, 1, 0), (7, 1, 1, 0), (7, 0, 2, 0), (7, 1, 2, 0), (7, 0, 3, 0), (7, 1, 3, 0)] */
v_mul_f32 v[vgprValuC+12], s[sgprAlpha], v[vgprValuC+12] // *= alpha
v_mul_f32 v[vgprValuC+13], s[sgprAlpha], v[vgprValuC+13] // *= alpha
	;; [unrolled: 1-line block ×32, first 2 shown]

/* apply mask, calc new C and issue writes */
v_mov_b32 v7, 0xffff0000                           // mask for pack two bfloat16 element to 32bit
v_mov_b32 v8, 0x7fff0000                           // fp32 Nan
v_mov_b32 v9, 0x7fff                               // rounding bias for bfloat16
v_cmp_u_f32 s[54:55], v[vgprValuC+12], v[vgprValuC+12] // check Nan
v_bfe_u32 v6, v[vgprValuC+12], 16, 1               // Non-Nan case: store lsb of bf16
v_add3_u32 v6, v[vgprValuC+12], v6, v9             // Non-Nan case: add lsb and the increment for rounding
v_cndmask_b32 v[vgprValuC+12], v6, v8, s[54:55]    // 
v_lshrrev_b32 v[vgprValuC+12], 16, v[vgprValuC+12] // convert C to bf16
v_cmp_u_f32 s[54:55], v[vgprValuC+13], v[vgprValuC+13] // check Nan
v_bfe_u32 v6, v[vgprValuC+13], 16, 1               // Non-Nan case: store lsb of bf16
v_add3_u32 v6, v[vgprValuC+13], v6, v9             // Non-Nan case: add lsb and the increment for rounding
v_cndmask_b32 v[vgprValuC+13], v6, v8, s[54:55]    // 
v_and_or_b32 v12, v[vgprValuC+13], v7, v[vgprValuC+12] // pack two bf16 to dword
v_cmp_u_f32 s[54:55], v[vgprValuC+14], v[vgprValuC+14] // check Nan
v_bfe_u32 v6, v[vgprValuC+14], 16, 1               // Non-Nan case: store lsb of bf16
v_add3_u32 v6, v[vgprValuC+14], v6, v9             // Non-Nan case: add lsb and the increment for rounding
v_cndmask_b32 v[vgprValuC+14], v6, v8, s[54:55]    // 
v_lshrrev_b32 v[vgprValuC+14], 16, v[vgprValuC+14] // convert C to bf16
v_cmp_u_f32 s[54:55], v[vgprValuC+15], v[vgprValuC+15] // check Nan
v_bfe_u32 v6, v[vgprValuC+15], 16, 1               // Non-Nan case: store lsb of bf16
v_add3_u32 v6, v[vgprValuC+15], v6, v9             // Non-Nan case: add lsb and the increment for rounding
v_cndmask_b32 v[vgprValuC+15], v6, v8, s[54:55]    // 
v_and_or_b32 v14, v[vgprValuC+15], v7, v[vgprValuC+14] // pack two bf16 to dword
v_cmp_u_f32 s[54:55], v[vgprValuC+16], v[vgprValuC+16] // check Nan
v_bfe_u32 v6, v[vgprValuC+16], 16, 1               // Non-Nan case: store lsb of bf16
v_add3_u32 v6, v[vgprValuC+16], v6, v9             // Non-Nan case: add lsb and the increment for rounding
v_cndmask_b32 v[vgprValuC+16], v6, v8, s[54:55]    // 
v_lshrrev_b32 v[vgprValuC+16], 16, v[vgprValuC+16] // convert C to bf16
v_cmp_u_f32 s[54:55], v[vgprValuC+17], v[vgprValuC+17] // check Nan
v_bfe_u32 v6, v[vgprValuC+17], 16, 1               // Non-Nan case: store lsb of bf16
v_add3_u32 v6, v[vgprValuC+17], v6, v9             // Non-Nan case: add lsb and the increment for rounding
v_cndmask_b32 v[vgprValuC+17], v6, v8, s[54:55]    // 
v_and_or_b32 v16, v[vgprValuC+17], v7, v[vgprValuC+16] // pack two bf16 to dword
v_cmp_u_f32 s[54:55], v[vgprValuC+18], v[vgprValuC+18] // check Nan
v_bfe_u32 v6, v[vgprValuC+18], 16, 1               // Non-Nan case: store lsb of bf16
v_add3_u32 v6, v[vgprValuC+18], v6, v9             // Non-Nan case: add lsb and the increment for rounding
v_cndmask_b32 v[vgprValuC+18], v6, v8, s[54:55]    // 
v_lshrrev_b32 v[vgprValuC+18], 16, v[vgprValuC+18] // convert C to bf16
v_cmp_u_f32 s[54:55], v[vgprValuC+19], v[vgprValuC+19] // check Nan
v_bfe_u32 v6, v[vgprValuC+19], 16, 1               // Non-Nan case: store lsb of bf16
v_add3_u32 v6, v[vgprValuC+19], v6, v9             // Non-Nan case: add lsb and the increment for rounding
v_cndmask_b32 v[vgprValuC+19], v6, v8, s[54:55]    // 
v_and_or_b32 v18, v[vgprValuC+19], v7, v[vgprValuC+18] // pack two bf16 to dword
v_cmp_u_f32 s[54:55], v[vgprValuC+20], v[vgprValuC+20] // check Nan
v_bfe_u32 v6, v[vgprValuC+20], 16, 1               // Non-Nan case: store lsb of bf16
v_add3_u32 v6, v[vgprValuC+20], v6, v9             // Non-Nan case: add lsb and the increment for rounding
v_cndmask_b32 v[vgprValuC+20], v6, v8, s[54:55]    // 
v_lshrrev_b32 v[vgprValuC+20], 16, v[vgprValuC+20] // convert C to bf16
v_cmp_u_f32 s[54:55], v[vgprValuC+21], v[vgprValuC+21] // check Nan
v_bfe_u32 v6, v[vgprValuC+21], 16, 1               // Non-Nan case: store lsb of bf16
v_add3_u32 v6, v[vgprValuC+21], v6, v9             // Non-Nan case: add lsb and the increment for rounding
v_cndmask_b32 v[vgprValuC+21], v6, v8, s[54:55]    // 
v_and_or_b32 v20, v[vgprValuC+21], v7, v[vgprValuC+20] // pack two bf16 to dword
v_cmp_u_f32 s[54:55], v[vgprValuC+22], v[vgprValuC+22] // check Nan
v_bfe_u32 v6, v[vgprValuC+22], 16, 1               // Non-Nan case: store lsb of bf16
v_add3_u32 v6, v[vgprValuC+22], v6, v9             // Non-Nan case: add lsb and the increment for rounding
v_cndmask_b32 v[vgprValuC+22], v6, v8, s[54:55]    // 
v_lshrrev_b32 v[vgprValuC+22], 16, v[vgprValuC+22] // convert C to bf16
v_cmp_u_f32 s[54:55], v[vgprValuC+23], v[vgprValuC+23] // check Nan
v_bfe_u32 v6, v[vgprValuC+23], 16, 1               // Non-Nan case: store lsb of bf16
v_add3_u32 v6, v[vgprValuC+23], v6, v9             // Non-Nan case: add lsb and the increment for rounding
v_cndmask_b32 v[vgprValuC+23], v6, v8, s[54:55]    // 
v_and_or_b32 v22, v[vgprValuC+23], v7, v[vgprValuC+22] // pack two bf16 to dword
v_cmp_u_f32 s[54:55], v[vgprValuC+24], v[vgprValuC+24] // check Nan
v_bfe_u32 v6, v[vgprValuC+24], 16, 1               // Non-Nan case: store lsb of bf16
v_add3_u32 v6, v[vgprValuC+24], v6, v9             // Non-Nan case: add lsb and the increment for rounding
v_cndmask_b32 v[vgprValuC+24], v6, v8, s[54:55]    // 
v_lshrrev_b32 v[vgprValuC+24], 16, v[vgprValuC+24] // convert C to bf16
v_cmp_u_f32 s[54:55], v[vgprValuC+25], v[vgprValuC+25] // check Nan
v_bfe_u32 v6, v[vgprValuC+25], 16, 1               // Non-Nan case: store lsb of bf16
v_add3_u32 v6, v[vgprValuC+25], v6, v9             // Non-Nan case: add lsb and the increment for rounding
v_cndmask_b32 v[vgprValuC+25], v6, v8, s[54:55]    // 
v_and_or_b32 v24, v[vgprValuC+25], v7, v[vgprValuC+24] // pack two bf16 to dword
v_cmp_u_f32 s[54:55], v[vgprValuC+26], v[vgprValuC+26] // check Nan
v_bfe_u32 v6, v[vgprValuC+26], 16, 1               // Non-Nan case: store lsb of bf16
v_add3_u32 v6, v[vgprValuC+26], v6, v9             // Non-Nan case: add lsb and the increment for rounding
v_cndmask_b32 v[vgprValuC+26], v6, v8, s[54:55]    // 
v_lshrrev_b32 v[vgprValuC+26], 16, v[vgprValuC+26] // convert C to bf16
v_cmp_u_f32 s[54:55], v[vgprValuC+27], v[vgprValuC+27] // check Nan
v_bfe_u32 v6, v[vgprValuC+27], 16, 1               // Non-Nan case: store lsb of bf16
v_add3_u32 v6, v[vgprValuC+27], v6, v9             // Non-Nan case: add lsb and the increment for rounding
v_cndmask_b32 v[vgprValuC+27], v6, v8, s[54:55]    // 
v_and_or_b32 v26, v[vgprValuC+27], v7, v[vgprValuC+26] // pack two bf16 to dword
v_cmp_u_f32 s[54:55], v[vgprValuC+28], v[vgprValuC+28] // check Nan
v_bfe_u32 v6, v[vgprValuC+28], 16, 1               // Non-Nan case: store lsb of bf16
v_add3_u32 v6, v[vgprValuC+28], v6, v9             // Non-Nan case: add lsb and the increment for rounding
v_cndmask_b32 v[vgprValuC+28], v6, v8, s[54:55]    // 
v_lshrrev_b32 v[vgprValuC+28], 16, v[vgprValuC+28] // convert C to bf16
v_cmp_u_f32 s[54:55], v[vgprValuC+29], v[vgprValuC+29] // check Nan
v_bfe_u32 v6, v[vgprValuC+29], 16, 1               // Non-Nan case: store lsb of bf16
v_add3_u32 v6, v[vgprValuC+29], v6, v9             // Non-Nan case: add lsb and the increment for rounding
v_cndmask_b32 v[vgprValuC+29], v6, v8, s[54:55]    // 
v_and_or_b32 v28, v[vgprValuC+29], v7, v[vgprValuC+28] // pack two bf16 to dword
v_cmp_u_f32 s[54:55], v[vgprValuC+30], v[vgprValuC+30] // check Nan
v_bfe_u32 v6, v[vgprValuC+30], 16, 1               // Non-Nan case: store lsb of bf16
v_add3_u32 v6, v[vgprValuC+30], v6, v9             // Non-Nan case: add lsb and the increment for rounding
v_cndmask_b32 v[vgprValuC+30], v6, v8, s[54:55]    // 
v_lshrrev_b32 v[vgprValuC+30], 16, v[vgprValuC+30] // convert C to bf16
v_cmp_u_f32 s[54:55], v[vgprValuC+31], v[vgprValuC+31] // check Nan
v_bfe_u32 v6, v[vgprValuC+31], 16, 1               // Non-Nan case: store lsb of bf16
v_add3_u32 v6, v[vgprValuC+31], v6, v9             // Non-Nan case: add lsb and the increment for rounding
v_cndmask_b32 v[vgprValuC+31], v6, v8, s[54:55]    // 
v_and_or_b32 v30, v[vgprValuC+31], v7, v[vgprValuC+30] // pack two bf16 to dword
v_cmp_u_f32 s[54:55], v[vgprValuC+32], v[vgprValuC+32] // check Nan
v_bfe_u32 v6, v[vgprValuC+32], 16, 1               // Non-Nan case: store lsb of bf16
v_add3_u32 v6, v[vgprValuC+32], v6, v9             // Non-Nan case: add lsb and the increment for rounding
v_cndmask_b32 v[vgprValuC+32], v6, v8, s[54:55]    // 
v_lshrrev_b32 v[vgprValuC+32], 16, v[vgprValuC+32] // convert C to bf16
v_cmp_u_f32 s[54:55], v[vgprValuC+33], v[vgprValuC+33] // check Nan
v_bfe_u32 v6, v[vgprValuC+33], 16, 1               // Non-Nan case: store lsb of bf16
v_add3_u32 v6, v[vgprValuC+33], v6, v9             // Non-Nan case: add lsb and the increment for rounding
v_cndmask_b32 v[vgprValuC+33], v6, v8, s[54:55]    // 
v_and_or_b32 v32, v[vgprValuC+33], v7, v[vgprValuC+32] // pack two bf16 to dword
v_cmp_u_f32 s[54:55], v[vgprValuC+34], v[vgprValuC+34] // check Nan
v_bfe_u32 v6, v[vgprValuC+34], 16, 1               // Non-Nan case: store lsb of bf16
v_add3_u32 v6, v[vgprValuC+34], v6, v9             // Non-Nan case: add lsb and the increment for rounding
v_cndmask_b32 v[vgprValuC+34], v6, v8, s[54:55]    // 
v_lshrrev_b32 v[vgprValuC+34], 16, v[vgprValuC+34] // convert C to bf16
v_cmp_u_f32 s[54:55], v[vgprValuC+35], v[vgprValuC+35] // check Nan
v_bfe_u32 v6, v[vgprValuC+35], 16, 1               // Non-Nan case: store lsb of bf16
v_add3_u32 v6, v[vgprValuC+35], v6, v9             // Non-Nan case: add lsb and the increment for rounding
v_cndmask_b32 v[vgprValuC+35], v6, v8, s[54:55]    // 
v_and_or_b32 v34, v[vgprValuC+35], v7, v[vgprValuC+34] // pack two bf16 to dword
v_cmp_u_f32 s[54:55], v[vgprValuC+36], v[vgprValuC+36] // check Nan
v_bfe_u32 v6, v[vgprValuC+36], 16, 1               // Non-Nan case: store lsb of bf16
v_add3_u32 v6, v[vgprValuC+36], v6, v9             // Non-Nan case: add lsb and the increment for rounding
v_cndmask_b32 v[vgprValuC+36], v6, v8, s[54:55]    // 
v_lshrrev_b32 v[vgprValuC+36], 16, v[vgprValuC+36] // convert C to bf16
v_cmp_u_f32 s[54:55], v[vgprValuC+37], v[vgprValuC+37] // check Nan
v_bfe_u32 v6, v[vgprValuC+37], 16, 1               // Non-Nan case: store lsb of bf16
v_add3_u32 v6, v[vgprValuC+37], v6, v9             // Non-Nan case: add lsb and the increment for rounding
v_cndmask_b32 v[vgprValuC+37], v6, v8, s[54:55]    // 
v_and_or_b32 v36, v[vgprValuC+37], v7, v[vgprValuC+36] // pack two bf16 to dword
v_cmp_u_f32 s[54:55], v[vgprValuC+38], v[vgprValuC+38] // check Nan
v_bfe_u32 v6, v[vgprValuC+38], 16, 1               // Non-Nan case: store lsb of bf16
v_add3_u32 v6, v[vgprValuC+38], v6, v9             // Non-Nan case: add lsb and the increment for rounding
v_cndmask_b32 v[vgprValuC+38], v6, v8, s[54:55]    // 
v_lshrrev_b32 v[vgprValuC+38], 16, v[vgprValuC+38] // convert C to bf16
v_cmp_u_f32 s[54:55], v[vgprValuC+39], v[vgprValuC+39] // check Nan
v_bfe_u32 v6, v[vgprValuC+39], 16, 1               // Non-Nan case: store lsb of bf16
v_add3_u32 v6, v[vgprValuC+39], v6, v9             // Non-Nan case: add lsb and the increment for rounding
v_cndmask_b32 v[vgprValuC+39], v6, v8, s[54:55]    // 
v_and_or_b32 v38, v[vgprValuC+39], v7, v[vgprValuC+38] // pack two bf16 to dword
v_cmp_u_f32 s[54:55], v[vgprValuC+40], v[vgprValuC+40] // check Nan
v_bfe_u32 v6, v[vgprValuC+40], 16, 1               // Non-Nan case: store lsb of bf16
v_add3_u32 v6, v[vgprValuC+40], v6, v9             // Non-Nan case: add lsb and the increment for rounding
v_cndmask_b32 v[vgprValuC+40], v6, v8, s[54:55]    // 
v_lshrrev_b32 v[vgprValuC+40], 16, v[vgprValuC+40] // convert C to bf16
v_cmp_u_f32 s[54:55], v[vgprValuC+41], v[vgprValuC+41] // check Nan
v_bfe_u32 v6, v[vgprValuC+41], 16, 1               // Non-Nan case: store lsb of bf16
v_add3_u32 v6, v[vgprValuC+41], v6, v9             // Non-Nan case: add lsb and the increment for rounding
v_cndmask_b32 v[vgprValuC+41], v6, v8, s[54:55]    // 
v_and_or_b32 v40, v[vgprValuC+41], v7, v[vgprValuC+40] // pack two bf16 to dword
v_cmp_u_f32 s[54:55], v[vgprValuC+42], v[vgprValuC+42] // check Nan
v_bfe_u32 v6, v[vgprValuC+42], 16, 1               // Non-Nan case: store lsb of bf16
v_add3_u32 v6, v[vgprValuC+42], v6, v9             // Non-Nan case: add lsb and the increment for rounding
v_cndmask_b32 v[vgprValuC+42], v6, v8, s[54:55]    // 
v_lshrrev_b32 v[vgprValuC+42], 16, v[vgprValuC+42] // convert C to bf16
v_cmp_u_f32 s[54:55], v[vgprValuC+43], v[vgprValuC+43] // check Nan
v_bfe_u32 v6, v[vgprValuC+43], 16, 1               // Non-Nan case: store lsb of bf16
v_add3_u32 v6, v[vgprValuC+43], v6, v9             // Non-Nan case: add lsb and the increment for rounding
v_cndmask_b32 v[vgprValuC+43], v6, v8, s[54:55]    // 
v_and_or_b32 v42, v[vgprValuC+43], v7, v[vgprValuC+42] // pack two bf16 to dword
s_mul_i32 s54, s[sgprStrideD1J], 10                // scale StrideD *= numRows(5) * bpe
s_add_u32  s[sgprSrdD+0], s[sgprSrdD+0], s54       // incToNextRow: gra SRD += inc(lower)
s_addc_u32  s[sgprSrdD+1], s[sgprSrdD+1], 0        // incToNextRow: gra SRD += inc(upper)
_buffer_store_b32 v12, v10, s[sgprSrdD:sgprSrdD+3], 0, offen, offset:0 // store D
_buffer_store_b32 v14, v10, s[sgprSrdD:sgprSrdD+3], 0, offen, offset:256 // store D
s_lshl_b32  s54, s[sgprStrideD1J], 1               // incToNextRow: Scale by BPE
s_add_u32  s[sgprSrdD+0], s[sgprSrdD+0], s54       // incToNextRow: gra SRD += inc(lower)
s_addc_u32  s[sgprSrdD+1], s[sgprSrdD+1], 0        // incToNextRow: gra SRD += inc(upper)
_buffer_store_b32 v16, v10, s[sgprSrdD:sgprSrdD+3], 0, offen, offset:0 // store D
_buffer_store_b32 v18, v10, s[sgprSrdD:sgprSrdD+3], 0, offen, offset:256 // store D
s_lshl_b32  s54, s[sgprStrideD1J], 1               // incToNextRow: Scale by BPE
	;; [unrolled: 5-line block ×3, first 2 shown]
s_add_u32  s[sgprSrdD+0], s[sgprSrdD+0], s54       // incToNextRow: gra SRD += inc(lower)
s_addc_u32  s[sgprSrdD+1], s[sgprSrdD+1], 0        // incToNextRow: gra SRD += inc(upper)
_buffer_store_b32 v24, v10, s[sgprSrdD:sgprSrdD+3], 0, offen, offset:0 // store D
_buffer_store_b32 v26, v10, s[sgprSrdD:sgprSrdD+3], 0, offen, offset:256 // store D
s_mul_i32 s54, s[sgprStrideD1J], 10                // scale StrideD *= numRows(5) * bpe
s_add_u32  s[sgprSrdD+0], s[sgprSrdD+0], s54       // incToNextRow: gra SRD += inc(lower)
s_addc_u32  s[sgprSrdD+1], s[sgprSrdD+1], 0        // incToNextRow: gra SRD += inc(upper)
_buffer_store_b32 v28, v10, s[sgprSrdD:sgprSrdD+3], 0, offen, offset:0 // store D
_buffer_store_b32 v30, v10, s[sgprSrdD:sgprSrdD+3], 0, offen, offset:256 // store D
s_lshl_b32  s54, s[sgprStrideD1J], 1               // incToNextRow: Scale by BPE
s_add_u32  s[sgprSrdD+0], s[sgprSrdD+0], s54       // incToNextRow: gra SRD += inc(lower)
s_addc_u32  s[sgprSrdD+1], s[sgprSrdD+1], 0        // incToNextRow: gra SRD += inc(upper)
_buffer_store_b32 v32, v10, s[sgprSrdD:sgprSrdD+3], 0, offen, offset:0 // store D
_buffer_store_b32 v34, v10, s[sgprSrdD:sgprSrdD+3], 0, offen, offset:256 // store D
s_lshl_b32  s54, s[sgprStrideD1J], 1               // incToNextRow: Scale by BPE
	;; [unrolled: 5-line block ×3, first 2 shown]
s_add_u32  s[sgprSrdD+0], s[sgprSrdD+0], s54       // incToNextRow: gra SRD += inc(lower)
s_addc_u32  s[sgprSrdD+1], s[sgprSrdD+1], 0        // incToNextRow: gra SRD += inc(upper)
_buffer_store_b32 v40, v10, s[sgprSrdD:sgprSrdD+3], 0, offen, offset:0 // store D
_buffer_store_b32 v42, v10, s[sgprSrdD:sgprSrdD+3], 0, offen, offset:256 // store D
s_nop 0                                            // 1 wait state required when next inst writes vgprs held by previous dwordx4 store inst
/* optSingleColVgpr=1 optSharedColVgpr=0 optSGPRUsage=BufferLoad_Mask optSrdIncForRow=1 */
s_sleep 3 // optimization: sync and wait
s_barrier

/******************************************/
/* Global Write Alpha Batch #4 (d1,d0,vc1,vc0) = */
/*    (8,0,0,0:vw2); (8,1,0,0:vw2); (8,0,1,0:vw2); (8,1,1,0:vw2); (8,0,2,0:vw2); (8,1,2,0:vw2); (8,0,3,0:vw2); (8,1,3,0:vw2); (9,0,0,0:vw2); (9,1,0,0:vw2); (9,0,1,0:vw2); (9,1,1,0:vw2); (9,0,2,0:vw2); (9,1,2,0:vw2); (9,0,3,0:vw2); (9,1,3,0:vw2) */
/******************************************/

/* calc coords, apply mask, and issue loads (if necessary) */
/* (d1,vc1,d0,vc0)=(8,0,0,0) */
/* (d1,vc1,d0,vc0)=(8,0,1,0) */
	;; [unrolled: 1-line block ×16, first 2 shown]
v_accvgpr_read_b32 v[vgprValuC+12], acc128 // copy acc to vreg[128]
v_accvgpr_read_b32 v[vgprValuC+13], acc144 // copy acc to vreg[129]
v_accvgpr_read_b32 v[vgprValuC+14], acc160 // copy acc to vreg[130]
v_accvgpr_read_b32 v[vgprValuC+15], acc176 // copy acc to vreg[131]
v_accvgpr_read_b32 v[vgprValuC+16], acc129 // copy acc to vreg[132]
v_accvgpr_read_b32 v[vgprValuC+17], acc145 // copy acc to vreg[133]
v_accvgpr_read_b32 v[vgprValuC+18], acc161 // copy acc to vreg[134]
v_accvgpr_read_b32 v[vgprValuC+19], acc177 // copy acc to vreg[135]
v_accvgpr_read_b32 v[vgprValuC+20], acc130 // copy acc to vreg[136]
v_accvgpr_read_b32 v[vgprValuC+21], acc146 // copy acc to vreg[137]
v_accvgpr_read_b32 v[vgprValuC+22], acc162 // copy acc to vreg[138]
v_accvgpr_read_b32 v[vgprValuC+23], acc178 // copy acc to vreg[139]
v_accvgpr_read_b32 v[vgprValuC+24], acc131 // copy acc to vreg[140]
v_accvgpr_read_b32 v[vgprValuC+25], acc147 // copy acc to vreg[141]
v_accvgpr_read_b32 v[vgprValuC+26], acc163 // copy acc to vreg[142]
v_accvgpr_read_b32 v[vgprValuC+27], acc179 // copy acc to vreg[143]
v_accvgpr_read_b32 v[vgprValuC+28], acc132 // copy acc to vreg[144]
v_accvgpr_read_b32 v[vgprValuC+29], acc148 // copy acc to vreg[145]
v_accvgpr_read_b32 v[vgprValuC+30], acc164 // copy acc to vreg[146]
v_accvgpr_read_b32 v[vgprValuC+31], acc180 // copy acc to vreg[147]
v_accvgpr_read_b32 v[vgprValuC+32], acc133 // copy acc to vreg[148]
v_accvgpr_read_b32 v[vgprValuC+33], acc149 // copy acc to vreg[149]
v_accvgpr_read_b32 v[vgprValuC+34], acc165 // copy acc to vreg[150]
v_accvgpr_read_b32 v[vgprValuC+35], acc181 // copy acc to vreg[151]
v_accvgpr_read_b32 v[vgprValuC+36], acc134 // copy acc to vreg[152]
v_accvgpr_read_b32 v[vgprValuC+37], acc150 // copy acc to vreg[153]
v_accvgpr_read_b32 v[vgprValuC+38], acc166 // copy acc to vreg[154]
v_accvgpr_read_b32 v[vgprValuC+39], acc182 // copy acc to vreg[155]
v_accvgpr_read_b32 v[vgprValuC+40], acc135 // copy acc to vreg[156]
v_accvgpr_read_b32 v[vgprValuC+41], acc151 // copy acc to vreg[157]
v_accvgpr_read_b32 v[vgprValuC+42], acc167 // copy acc to vreg[158]
v_accvgpr_read_b32 v[vgprValuC+43], acc183 // copy acc to vreg[159]
s_nop 1                                            // 2 wait states required before reading vgpr

/* rC *= alpha batchElements=[(8, 0, 0, 0), (8, 1, 0, 0), (8, 0, 1, 0), (8, 1, 1, 0), (8, 0, 2, 0), (8, 1, 2, 0), (8, 0, 3, 0), (8, 1, 3, 0), (9, 0, 0, 0), (9, 1, 0, 0), (9, 0, 1, 0), (9, 1, 1, 0), (9, 0, 2, 0), (9, 1, 2, 0), (9, 0, 3, 0), (9, 1, 3, 0)] */
v_mul_f32 v[vgprValuC+12], s[sgprAlpha], v[vgprValuC+12] // *= alpha
v_mul_f32 v[vgprValuC+13], s[sgprAlpha], v[vgprValuC+13] // *= alpha
	;; [unrolled: 1-line block ×32, first 2 shown]

/* apply mask, calc new C and issue writes */
v_mov_b32 v7, 0xffff0000                           // mask for pack two bfloat16 element to 32bit
v_mov_b32 v8, 0x7fff0000                           // fp32 Nan
v_mov_b32 v9, 0x7fff                               // rounding bias for bfloat16
v_cmp_u_f32 s[54:55], v[vgprValuC+12], v[vgprValuC+12] // check Nan
v_bfe_u32 v6, v[vgprValuC+12], 16, 1               // Non-Nan case: store lsb of bf16
v_add3_u32 v6, v[vgprValuC+12], v6, v9             // Non-Nan case: add lsb and the increment for rounding
v_cndmask_b32 v[vgprValuC+12], v6, v8, s[54:55]    // 
v_lshrrev_b32 v[vgprValuC+12], 16, v[vgprValuC+12] // convert C to bf16
v_cmp_u_f32 s[54:55], v[vgprValuC+13], v[vgprValuC+13] // check Nan
v_bfe_u32 v6, v[vgprValuC+13], 16, 1               // Non-Nan case: store lsb of bf16
v_add3_u32 v6, v[vgprValuC+13], v6, v9             // Non-Nan case: add lsb and the increment for rounding
v_cndmask_b32 v[vgprValuC+13], v6, v8, s[54:55]    // 
v_and_or_b32 v12, v[vgprValuC+13], v7, v[vgprValuC+12] // pack two bf16 to dword
v_cmp_u_f32 s[54:55], v[vgprValuC+14], v[vgprValuC+14] // check Nan
v_bfe_u32 v6, v[vgprValuC+14], 16, 1               // Non-Nan case: store lsb of bf16
v_add3_u32 v6, v[vgprValuC+14], v6, v9             // Non-Nan case: add lsb and the increment for rounding
v_cndmask_b32 v[vgprValuC+14], v6, v8, s[54:55]    // 
v_lshrrev_b32 v[vgprValuC+14], 16, v[vgprValuC+14] // convert C to bf16
v_cmp_u_f32 s[54:55], v[vgprValuC+15], v[vgprValuC+15] // check Nan
v_bfe_u32 v6, v[vgprValuC+15], 16, 1               // Non-Nan case: store lsb of bf16
v_add3_u32 v6, v[vgprValuC+15], v6, v9             // Non-Nan case: add lsb and the increment for rounding
v_cndmask_b32 v[vgprValuC+15], v6, v8, s[54:55]    // 
v_and_or_b32 v14, v[vgprValuC+15], v7, v[vgprValuC+14] // pack two bf16 to dword
	;; [unrolled: 10-line block ×16, first 2 shown]
s_mul_i32 s54, s[sgprStrideD1J], 74                // scale StrideD *= numRows(37) * bpe
s_add_u32  s[sgprSrdD+0], s[sgprSrdD+0], s54       // incToNextRow: gra SRD += inc(lower)
s_addc_u32  s[sgprSrdD+1], s[sgprSrdD+1], 0        // incToNextRow: gra SRD += inc(upper)
_buffer_store_b32 v12, v10, s[sgprSrdD:sgprSrdD+3], 0, offen, offset:0 // store D
_buffer_store_b32 v14, v10, s[sgprSrdD:sgprSrdD+3], 0, offen, offset:256 // store D
s_lshl_b32  s54, s[sgprStrideD1J], 1               // incToNextRow: Scale by BPE
s_add_u32  s[sgprSrdD+0], s[sgprSrdD+0], s54       // incToNextRow: gra SRD += inc(lower)
s_addc_u32  s[sgprSrdD+1], s[sgprSrdD+1], 0        // incToNextRow: gra SRD += inc(upper)
_buffer_store_b32 v16, v10, s[sgprSrdD:sgprSrdD+3], 0, offen, offset:0 // store D
_buffer_store_b32 v18, v10, s[sgprSrdD:sgprSrdD+3], 0, offen, offset:256 // store D
s_lshl_b32  s54, s[sgprStrideD1J], 1               // incToNextRow: Scale by BPE
	;; [unrolled: 5-line block ×3, first 2 shown]
s_add_u32  s[sgprSrdD+0], s[sgprSrdD+0], s54       // incToNextRow: gra SRD += inc(lower)
s_addc_u32  s[sgprSrdD+1], s[sgprSrdD+1], 0        // incToNextRow: gra SRD += inc(upper)
_buffer_store_b32 v24, v10, s[sgprSrdD:sgprSrdD+3], 0, offen, offset:0 // store D
_buffer_store_b32 v26, v10, s[sgprSrdD:sgprSrdD+3], 0, offen, offset:256 // store D
s_mul_i32 s54, s[sgprStrideD1J], 10                // scale StrideD *= numRows(5) * bpe
s_add_u32  s[sgprSrdD+0], s[sgprSrdD+0], s54       // incToNextRow: gra SRD += inc(lower)
s_addc_u32  s[sgprSrdD+1], s[sgprSrdD+1], 0        // incToNextRow: gra SRD += inc(upper)
_buffer_store_b32 v28, v10, s[sgprSrdD:sgprSrdD+3], 0, offen, offset:0 // store D
_buffer_store_b32 v30, v10, s[sgprSrdD:sgprSrdD+3], 0, offen, offset:256 // store D
s_lshl_b32  s54, s[sgprStrideD1J], 1               // incToNextRow: Scale by BPE
s_add_u32  s[sgprSrdD+0], s[sgprSrdD+0], s54       // incToNextRow: gra SRD += inc(lower)
s_addc_u32  s[sgprSrdD+1], s[sgprSrdD+1], 0        // incToNextRow: gra SRD += inc(upper)
_buffer_store_b32 v32, v10, s[sgprSrdD:sgprSrdD+3], 0, offen, offset:0 // store D
_buffer_store_b32 v34, v10, s[sgprSrdD:sgprSrdD+3], 0, offen, offset:256 // store D
s_lshl_b32  s54, s[sgprStrideD1J], 1               // incToNextRow: Scale by BPE
	;; [unrolled: 5-line block ×3, first 2 shown]
s_add_u32  s[sgprSrdD+0], s[sgprSrdD+0], s54       // incToNextRow: gra SRD += inc(lower)
s_addc_u32  s[sgprSrdD+1], s[sgprSrdD+1], 0        // incToNextRow: gra SRD += inc(upper)
_buffer_store_b32 v40, v10, s[sgprSrdD:sgprSrdD+3], 0, offen, offset:0 // store D
_buffer_store_b32 v42, v10, s[sgprSrdD:sgprSrdD+3], 0, offen, offset:256 // store D
s_nop 0                                            // 1 wait state required when next inst writes vgprs held by previous dwordx4 store inst
/* optSingleColVgpr=1 optSharedColVgpr=0 optSGPRUsage=BufferLoad_Mask optSrdIncForRow=1 */
s_sleep 3 // optimization: sync and wait
s_barrier

/******************************************/
/* Global Write Alpha Batch #5 (d1,d0,vc1,vc0) = */
/*    (10,0,0,0:vw2); (10,1,0,0:vw2); (10,0,1,0:vw2); (10,1,1,0:vw2); (10,0,2,0:vw2); (10,1,2,0:vw2); (10,0,3,0:vw2); (10,1,3,0:vw2); (11,0,0,0:vw2); (11,1,0,0:vw2); (11,0,1,0:vw2); (11,1,1,0:vw2); (11,0,2,0:vw2); (11,1,2,0:vw2); (11,0,3,0:vw2); (11,1,3,0:vw2) */
/******************************************/

/* calc coords, apply mask, and issue loads (if necessary) */
/* (d1,vc1,d0,vc0)=(10,0,0,0) */
/* (d1,vc1,d0,vc0)=(10,0,1,0) */
	;; [unrolled: 1-line block ×16, first 2 shown]
v_accvgpr_read_b32 v[vgprValuC+12], acc136 // copy acc to vreg[160]
v_accvgpr_read_b32 v[vgprValuC+13], acc152 // copy acc to vreg[161]
v_accvgpr_read_b32 v[vgprValuC+14], acc168 // copy acc to vreg[162]
v_accvgpr_read_b32 v[vgprValuC+15], acc184 // copy acc to vreg[163]
v_accvgpr_read_b32 v[vgprValuC+16], acc137 // copy acc to vreg[164]
v_accvgpr_read_b32 v[vgprValuC+17], acc153 // copy acc to vreg[165]
v_accvgpr_read_b32 v[vgprValuC+18], acc169 // copy acc to vreg[166]
v_accvgpr_read_b32 v[vgprValuC+19], acc185 // copy acc to vreg[167]
v_accvgpr_read_b32 v[vgprValuC+20], acc138 // copy acc to vreg[168]
v_accvgpr_read_b32 v[vgprValuC+21], acc154 // copy acc to vreg[169]
v_accvgpr_read_b32 v[vgprValuC+22], acc170 // copy acc to vreg[170]
v_accvgpr_read_b32 v[vgprValuC+23], acc186 // copy acc to vreg[171]
v_accvgpr_read_b32 v[vgprValuC+24], acc139 // copy acc to vreg[172]
v_accvgpr_read_b32 v[vgprValuC+25], acc155 // copy acc to vreg[173]
v_accvgpr_read_b32 v[vgprValuC+26], acc171 // copy acc to vreg[174]
v_accvgpr_read_b32 v[vgprValuC+27], acc187 // copy acc to vreg[175]
v_accvgpr_read_b32 v[vgprValuC+28], acc140 // copy acc to vreg[176]
v_accvgpr_read_b32 v[vgprValuC+29], acc156 // copy acc to vreg[177]
v_accvgpr_read_b32 v[vgprValuC+30], acc172 // copy acc to vreg[178]
v_accvgpr_read_b32 v[vgprValuC+31], acc188 // copy acc to vreg[179]
v_accvgpr_read_b32 v[vgprValuC+32], acc141 // copy acc to vreg[180]
v_accvgpr_read_b32 v[vgprValuC+33], acc157 // copy acc to vreg[181]
v_accvgpr_read_b32 v[vgprValuC+34], acc173 // copy acc to vreg[182]
v_accvgpr_read_b32 v[vgprValuC+35], acc189 // copy acc to vreg[183]
v_accvgpr_read_b32 v[vgprValuC+36], acc142 // copy acc to vreg[184]
v_accvgpr_read_b32 v[vgprValuC+37], acc158 // copy acc to vreg[185]
v_accvgpr_read_b32 v[vgprValuC+38], acc174 // copy acc to vreg[186]
v_accvgpr_read_b32 v[vgprValuC+39], acc190 // copy acc to vreg[187]
v_accvgpr_read_b32 v[vgprValuC+40], acc143 // copy acc to vreg[188]
v_accvgpr_read_b32 v[vgprValuC+41], acc159 // copy acc to vreg[189]
v_accvgpr_read_b32 v[vgprValuC+42], acc175 // copy acc to vreg[190]
v_accvgpr_read_b32 v[vgprValuC+43], acc191 // copy acc to vreg[191]
s_nop 1                                            // 2 wait states required before reading vgpr

/* rC *= alpha batchElements=[(10, 0, 0, 0), (10, 1, 0, 0), (10, 0, 1, 0), (10, 1, 1, 0), (10, 0, 2, 0), (10, 1, 2, 0), (10, 0, 3, 0), (10, 1, 3, 0), (11, 0, 0, 0), (11, 1, 0, 0), (11, 0, 1, 0), (11, 1, 1, 0), (11, 0, 2, 0), (11, 1, 2, 0), (11, 0, 3, 0), (11, 1, 3, 0)] */
v_mul_f32 v[vgprValuC+12], s[sgprAlpha], v[vgprValuC+12] // *= alpha
v_mul_f32 v[vgprValuC+13], s[sgprAlpha], v[vgprValuC+13] // *= alpha
	;; [unrolled: 1-line block ×32, first 2 shown]

/* apply mask, calc new C and issue writes */
v_mov_b32 v7, 0xffff0000                           // mask for pack two bfloat16 element to 32bit
v_mov_b32 v8, 0x7fff0000                           // fp32 Nan
v_mov_b32 v9, 0x7fff                               // rounding bias for bfloat16
v_cmp_u_f32 s[54:55], v[vgprValuC+12], v[vgprValuC+12] // check Nan
v_bfe_u32 v6, v[vgprValuC+12], 16, 1               // Non-Nan case: store lsb of bf16
v_add3_u32 v6, v[vgprValuC+12], v6, v9             // Non-Nan case: add lsb and the increment for rounding
v_cndmask_b32 v[vgprValuC+12], v6, v8, s[54:55]    // 
v_lshrrev_b32 v[vgprValuC+12], 16, v[vgprValuC+12] // convert C to bf16
v_cmp_u_f32 s[54:55], v[vgprValuC+13], v[vgprValuC+13] // check Nan
v_bfe_u32 v6, v[vgprValuC+13], 16, 1               // Non-Nan case: store lsb of bf16
v_add3_u32 v6, v[vgprValuC+13], v6, v9             // Non-Nan case: add lsb and the increment for rounding
v_cndmask_b32 v[vgprValuC+13], v6, v8, s[54:55]    // 
v_and_or_b32 v12, v[vgprValuC+13], v7, v[vgprValuC+12] // pack two bf16 to dword
v_cmp_u_f32 s[54:55], v[vgprValuC+14], v[vgprValuC+14] // check Nan
v_bfe_u32 v6, v[vgprValuC+14], 16, 1               // Non-Nan case: store lsb of bf16
v_add3_u32 v6, v[vgprValuC+14], v6, v9             // Non-Nan case: add lsb and the increment for rounding
v_cndmask_b32 v[vgprValuC+14], v6, v8, s[54:55]    // 
v_lshrrev_b32 v[vgprValuC+14], 16, v[vgprValuC+14] // convert C to bf16
v_cmp_u_f32 s[54:55], v[vgprValuC+15], v[vgprValuC+15] // check Nan
v_bfe_u32 v6, v[vgprValuC+15], 16, 1               // Non-Nan case: store lsb of bf16
v_add3_u32 v6, v[vgprValuC+15], v6, v9             // Non-Nan case: add lsb and the increment for rounding
v_cndmask_b32 v[vgprValuC+15], v6, v8, s[54:55]    // 
v_and_or_b32 v14, v[vgprValuC+15], v7, v[vgprValuC+14] // pack two bf16 to dword
	;; [unrolled: 10-line block ×16, first 2 shown]
s_mul_i32 s54, s[sgprStrideD1J], 10                // scale StrideD *= numRows(5) * bpe
s_add_u32  s[sgprSrdD+0], s[sgprSrdD+0], s54       // incToNextRow: gra SRD += inc(lower)
s_addc_u32  s[sgprSrdD+1], s[sgprSrdD+1], 0        // incToNextRow: gra SRD += inc(upper)
_buffer_store_b32 v12, v10, s[sgprSrdD:sgprSrdD+3], 0, offen, offset:0 // store D
_buffer_store_b32 v14, v10, s[sgprSrdD:sgprSrdD+3], 0, offen, offset:256 // store D
s_lshl_b32  s54, s[sgprStrideD1J], 1               // incToNextRow: Scale by BPE
s_add_u32  s[sgprSrdD+0], s[sgprSrdD+0], s54       // incToNextRow: gra SRD += inc(lower)
s_addc_u32  s[sgprSrdD+1], s[sgprSrdD+1], 0        // incToNextRow: gra SRD += inc(upper)
_buffer_store_b32 v16, v10, s[sgprSrdD:sgprSrdD+3], 0, offen, offset:0 // store D
_buffer_store_b32 v18, v10, s[sgprSrdD:sgprSrdD+3], 0, offen, offset:256 // store D
s_lshl_b32  s54, s[sgprStrideD1J], 1               // incToNextRow: Scale by BPE
	;; [unrolled: 5-line block ×3, first 2 shown]
s_add_u32  s[sgprSrdD+0], s[sgprSrdD+0], s54       // incToNextRow: gra SRD += inc(lower)
s_addc_u32  s[sgprSrdD+1], s[sgprSrdD+1], 0        // incToNextRow: gra SRD += inc(upper)
_buffer_store_b32 v24, v10, s[sgprSrdD:sgprSrdD+3], 0, offen, offset:0 // store D
_buffer_store_b32 v26, v10, s[sgprSrdD:sgprSrdD+3], 0, offen, offset:256 // store D
s_mul_i32 s54, s[sgprStrideD1J], 10                // scale StrideD *= numRows(5) * bpe
s_add_u32  s[sgprSrdD+0], s[sgprSrdD+0], s54       // incToNextRow: gra SRD += inc(lower)
s_addc_u32  s[sgprSrdD+1], s[sgprSrdD+1], 0        // incToNextRow: gra SRD += inc(upper)
_buffer_store_b32 v28, v10, s[sgprSrdD:sgprSrdD+3], 0, offen, offset:0 // store D
_buffer_store_b32 v30, v10, s[sgprSrdD:sgprSrdD+3], 0, offen, offset:256 // store D
s_lshl_b32  s54, s[sgprStrideD1J], 1               // incToNextRow: Scale by BPE
s_add_u32  s[sgprSrdD+0], s[sgprSrdD+0], s54       // incToNextRow: gra SRD += inc(lower)
s_addc_u32  s[sgprSrdD+1], s[sgprSrdD+1], 0        // incToNextRow: gra SRD += inc(upper)
_buffer_store_b32 v32, v10, s[sgprSrdD:sgprSrdD+3], 0, offen, offset:0 // store D
_buffer_store_b32 v34, v10, s[sgprSrdD:sgprSrdD+3], 0, offen, offset:256 // store D
s_lshl_b32  s54, s[sgprStrideD1J], 1               // incToNextRow: Scale by BPE
s_add_u32  s[sgprSrdD+0], s[sgprSrdD+0], s54       // incToNextRow: gra SRD += inc(lower)
s_addc_u32  s[sgprSrdD+1], s[sgprSrdD+1], 0        // incToNextRow: gra SRD += inc(upper)
_buffer_store_b32 v36, v10, s[sgprSrdD:sgprSrdD+3], 0, offen, offset:0 // store D
_buffer_store_b32 v38, v10, s[sgprSrdD:sgprSrdD+3], 0, offen, offset:256 // store D
s_lshl_b32  s54, s[sgprStrideD1J], 1               // incToNextRow: Scale by BPE
s_add_u32  s[sgprSrdD+0], s[sgprSrdD+0], s54       // incToNextRow: gra SRD += inc(lower)
s_addc_u32  s[sgprSrdD+1], s[sgprSrdD+1], 0        // incToNextRow: gra SRD += inc(upper)
_buffer_store_b32 v40, v10, s[sgprSrdD:sgprSrdD+3], 0, offen, offset:0 // store D
_buffer_store_b32 v42, v10, s[sgprSrdD:sgprSrdD+3], 0, offen, offset:256 // store D
s_nop 0                                            // 1 wait state required when next inst writes vgprs held by previous dwordx4 store inst
/* optSingleColVgpr=1 optSharedColVgpr=0 optSGPRUsage=BufferLoad_Mask optSrdIncForRow=1 */
s_sleep 3 // optimization: sync and wait
s_barrier

/******************************************/
/* Global Write Alpha Batch #6 (d1,d0,vc1,vc0) = */
/*    (12,0,0,0:vw2); (12,1,0,0:vw2); (12,0,1,0:vw2); (12,1,1,0:vw2); (12,0,2,0:vw2); (12,1,2,0:vw2); (12,0,3,0:vw2); (12,1,3,0:vw2); (13,0,0,0:vw2); (13,1,0,0:vw2); (13,0,1,0:vw2); (13,1,1,0:vw2); (13,0,2,0:vw2); (13,1,2,0:vw2); (13,0,3,0:vw2); (13,1,3,0:vw2) */
/******************************************/

/* calc coords, apply mask, and issue loads (if necessary) */
/* (d1,vc1,d0,vc0)=(12,0,0,0) */
/* (d1,vc1,d0,vc0)=(12,0,1,0) */
	;; [unrolled: 1-line block ×16, first 2 shown]
v_accvgpr_read_b32 v[vgprValuC+12], acc192 // copy acc to vreg[192]
v_accvgpr_read_b32 v[vgprValuC+13], acc208 // copy acc to vreg[193]
v_accvgpr_read_b32 v[vgprValuC+14], acc224 // copy acc to vreg[194]
v_accvgpr_read_b32 v[vgprValuC+15], acc240 // copy acc to vreg[195]
v_accvgpr_read_b32 v[vgprValuC+16], acc193 // copy acc to vreg[196]
v_accvgpr_read_b32 v[vgprValuC+17], acc209 // copy acc to vreg[197]
v_accvgpr_read_b32 v[vgprValuC+18], acc225 // copy acc to vreg[198]
v_accvgpr_read_b32 v[vgprValuC+19], acc241 // copy acc to vreg[199]
v_accvgpr_read_b32 v[vgprValuC+20], acc194 // copy acc to vreg[200]
v_accvgpr_read_b32 v[vgprValuC+21], acc210 // copy acc to vreg[201]
v_accvgpr_read_b32 v[vgprValuC+22], acc226 // copy acc to vreg[202]
v_accvgpr_read_b32 v[vgprValuC+23], acc242 // copy acc to vreg[203]
v_accvgpr_read_b32 v[vgprValuC+24], acc195 // copy acc to vreg[204]
v_accvgpr_read_b32 v[vgprValuC+25], acc211 // copy acc to vreg[205]
v_accvgpr_read_b32 v[vgprValuC+26], acc227 // copy acc to vreg[206]
v_accvgpr_read_b32 v[vgprValuC+27], acc243 // copy acc to vreg[207]
v_accvgpr_read_b32 v[vgprValuC+28], acc196 // copy acc to vreg[208]
v_accvgpr_read_b32 v[vgprValuC+29], acc212 // copy acc to vreg[209]
v_accvgpr_read_b32 v[vgprValuC+30], acc228 // copy acc to vreg[210]
v_accvgpr_read_b32 v[vgprValuC+31], acc244 // copy acc to vreg[211]
v_accvgpr_read_b32 v[vgprValuC+32], acc197 // copy acc to vreg[212]
v_accvgpr_read_b32 v[vgprValuC+33], acc213 // copy acc to vreg[213]
v_accvgpr_read_b32 v[vgprValuC+34], acc229 // copy acc to vreg[214]
v_accvgpr_read_b32 v[vgprValuC+35], acc245 // copy acc to vreg[215]
v_accvgpr_read_b32 v[vgprValuC+36], acc198 // copy acc to vreg[216]
v_accvgpr_read_b32 v[vgprValuC+37], acc214 // copy acc to vreg[217]
v_accvgpr_read_b32 v[vgprValuC+38], acc230 // copy acc to vreg[218]
v_accvgpr_read_b32 v[vgprValuC+39], acc246 // copy acc to vreg[219]
v_accvgpr_read_b32 v[vgprValuC+40], acc199 // copy acc to vreg[220]
v_accvgpr_read_b32 v[vgprValuC+41], acc215 // copy acc to vreg[221]
v_accvgpr_read_b32 v[vgprValuC+42], acc231 // copy acc to vreg[222]
v_accvgpr_read_b32 v[vgprValuC+43], acc247 // copy acc to vreg[223]
s_nop 1                                            // 2 wait states required before reading vgpr

/* rC *= alpha batchElements=[(12, 0, 0, 0), (12, 1, 0, 0), (12, 0, 1, 0), (12, 1, 1, 0), (12, 0, 2, 0), (12, 1, 2, 0), (12, 0, 3, 0), (12, 1, 3, 0), (13, 0, 0, 0), (13, 1, 0, 0), (13, 0, 1, 0), (13, 1, 1, 0), (13, 0, 2, 0), (13, 1, 2, 0), (13, 0, 3, 0), (13, 1, 3, 0)] */
v_mul_f32 v[vgprValuC+12], s[sgprAlpha], v[vgprValuC+12] // *= alpha
v_mul_f32 v[vgprValuC+13], s[sgprAlpha], v[vgprValuC+13] // *= alpha
	;; [unrolled: 1-line block ×32, first 2 shown]

/* apply mask, calc new C and issue writes */
v_mov_b32 v7, 0xffff0000                           // mask for pack two bfloat16 element to 32bit
v_mov_b32 v8, 0x7fff0000                           // fp32 Nan
v_mov_b32 v9, 0x7fff                               // rounding bias for bfloat16
v_cmp_u_f32 s[54:55], v[vgprValuC+12], v[vgprValuC+12] // check Nan
v_bfe_u32 v6, v[vgprValuC+12], 16, 1               // Non-Nan case: store lsb of bf16
v_add3_u32 v6, v[vgprValuC+12], v6, v9             // Non-Nan case: add lsb and the increment for rounding
v_cndmask_b32 v[vgprValuC+12], v6, v8, s[54:55]    // 
v_lshrrev_b32 v[vgprValuC+12], 16, v[vgprValuC+12] // convert C to bf16
v_cmp_u_f32 s[54:55], v[vgprValuC+13], v[vgprValuC+13] // check Nan
v_bfe_u32 v6, v[vgprValuC+13], 16, 1               // Non-Nan case: store lsb of bf16
v_add3_u32 v6, v[vgprValuC+13], v6, v9             // Non-Nan case: add lsb and the increment for rounding
v_cndmask_b32 v[vgprValuC+13], v6, v8, s[54:55]    // 
v_and_or_b32 v12, v[vgprValuC+13], v7, v[vgprValuC+12] // pack two bf16 to dword
v_cmp_u_f32 s[54:55], v[vgprValuC+14], v[vgprValuC+14] // check Nan
v_bfe_u32 v6, v[vgprValuC+14], 16, 1               // Non-Nan case: store lsb of bf16
v_add3_u32 v6, v[vgprValuC+14], v6, v9             // Non-Nan case: add lsb and the increment for rounding
v_cndmask_b32 v[vgprValuC+14], v6, v8, s[54:55]    // 
v_lshrrev_b32 v[vgprValuC+14], 16, v[vgprValuC+14] // convert C to bf16
v_cmp_u_f32 s[54:55], v[vgprValuC+15], v[vgprValuC+15] // check Nan
v_bfe_u32 v6, v[vgprValuC+15], 16, 1               // Non-Nan case: store lsb of bf16
v_add3_u32 v6, v[vgprValuC+15], v6, v9             // Non-Nan case: add lsb and the increment for rounding
v_cndmask_b32 v[vgprValuC+15], v6, v8, s[54:55]    // 
v_and_or_b32 v14, v[vgprValuC+15], v7, v[vgprValuC+14] // pack two bf16 to dword
	;; [unrolled: 10-line block ×16, first 2 shown]
s_mul_i32 s54, s[sgprStrideD1J], 74                // scale StrideD *= numRows(37) * bpe
s_add_u32  s[sgprSrdD+0], s[sgprSrdD+0], s54       // incToNextRow: gra SRD += inc(lower)
s_addc_u32  s[sgprSrdD+1], s[sgprSrdD+1], 0        // incToNextRow: gra SRD += inc(upper)
_buffer_store_b32 v12, v10, s[sgprSrdD:sgprSrdD+3], 0, offen, offset:0 // store D
_buffer_store_b32 v14, v10, s[sgprSrdD:sgprSrdD+3], 0, offen, offset:256 // store D
s_lshl_b32  s54, s[sgprStrideD1J], 1               // incToNextRow: Scale by BPE
s_add_u32  s[sgprSrdD+0], s[sgprSrdD+0], s54       // incToNextRow: gra SRD += inc(lower)
s_addc_u32  s[sgprSrdD+1], s[sgprSrdD+1], 0        // incToNextRow: gra SRD += inc(upper)
_buffer_store_b32 v16, v10, s[sgprSrdD:sgprSrdD+3], 0, offen, offset:0 // store D
_buffer_store_b32 v18, v10, s[sgprSrdD:sgprSrdD+3], 0, offen, offset:256 // store D
s_lshl_b32  s54, s[sgprStrideD1J], 1               // incToNextRow: Scale by BPE
	;; [unrolled: 5-line block ×3, first 2 shown]
s_add_u32  s[sgprSrdD+0], s[sgprSrdD+0], s54       // incToNextRow: gra SRD += inc(lower)
s_addc_u32  s[sgprSrdD+1], s[sgprSrdD+1], 0        // incToNextRow: gra SRD += inc(upper)
_buffer_store_b32 v24, v10, s[sgprSrdD:sgprSrdD+3], 0, offen, offset:0 // store D
_buffer_store_b32 v26, v10, s[sgprSrdD:sgprSrdD+3], 0, offen, offset:256 // store D
s_mul_i32 s54, s[sgprStrideD1J], 10                // scale StrideD *= numRows(5) * bpe
s_add_u32  s[sgprSrdD+0], s[sgprSrdD+0], s54       // incToNextRow: gra SRD += inc(lower)
s_addc_u32  s[sgprSrdD+1], s[sgprSrdD+1], 0        // incToNextRow: gra SRD += inc(upper)
_buffer_store_b32 v28, v10, s[sgprSrdD:sgprSrdD+3], 0, offen, offset:0 // store D
_buffer_store_b32 v30, v10, s[sgprSrdD:sgprSrdD+3], 0, offen, offset:256 // store D
s_lshl_b32  s54, s[sgprStrideD1J], 1               // incToNextRow: Scale by BPE
s_add_u32  s[sgprSrdD+0], s[sgprSrdD+0], s54       // incToNextRow: gra SRD += inc(lower)
s_addc_u32  s[sgprSrdD+1], s[sgprSrdD+1], 0        // incToNextRow: gra SRD += inc(upper)
_buffer_store_b32 v32, v10, s[sgprSrdD:sgprSrdD+3], 0, offen, offset:0 // store D
_buffer_store_b32 v34, v10, s[sgprSrdD:sgprSrdD+3], 0, offen, offset:256 // store D
s_lshl_b32  s54, s[sgprStrideD1J], 1               // incToNextRow: Scale by BPE
s_add_u32  s[sgprSrdD+0], s[sgprSrdD+0], s54       // incToNextRow: gra SRD += inc(lower)
s_addc_u32  s[sgprSrdD+1], s[sgprSrdD+1], 0        // incToNextRow: gra SRD += inc(upper)
_buffer_store_b32 v36, v10, s[sgprSrdD:sgprSrdD+3], 0, offen, offset:0 // store D
_buffer_store_b32 v38, v10, s[sgprSrdD:sgprSrdD+3], 0, offen, offset:256 // store D
s_lshl_b32  s54, s[sgprStrideD1J], 1               // incToNextRow: Scale by BPE
s_add_u32  s[sgprSrdD+0], s[sgprSrdD+0], s54       // incToNextRow: gra SRD += inc(lower)
s_addc_u32  s[sgprSrdD+1], s[sgprSrdD+1], 0        // incToNextRow: gra SRD += inc(upper)
_buffer_store_b32 v40, v10, s[sgprSrdD:sgprSrdD+3], 0, offen, offset:0 // store D
_buffer_store_b32 v42, v10, s[sgprSrdD:sgprSrdD+3], 0, offen, offset:256 // store D
s_nop 0                                            // 1 wait state required when next inst writes vgprs held by previous dwordx4 store inst
/* optSingleColVgpr=1 optSharedColVgpr=0 optSGPRUsage=BufferLoad_Mask optSrdIncForRow=1 */
s_sleep 3 // optimization: sync and wait
s_barrier

/******************************************/
/* Global Write Alpha Batch #7 (d1,d0,vc1,vc0) = */
/*    (14,0,0,0:vw2); (14,1,0,0:vw2); (14,0,1,0:vw2); (14,1,1,0:vw2); (14,0,2,0:vw2); (14,1,2,0:vw2); (14,0,3,0:vw2); (14,1,3,0:vw2); (15,0,0,0:vw2); (15,1,0,0:vw2); (15,0,1,0:vw2); (15,1,1,0:vw2); (15,0,2,0:vw2); (15,1,2,0:vw2); (15,0,3,0:vw2); (15,1,3,0:vw2) */
/******************************************/

/* calc coords, apply mask, and issue loads (if necessary) */
/* (d1,vc1,d0,vc0)=(14,0,0,0) */
/* (d1,vc1,d0,vc0)=(14,0,1,0) */
/* (d1,vc1,d0,vc0)=(14,1,0,0) */
/* (d1,vc1,d0,vc0)=(14,1,1,0) */
/* (d1,vc1,d0,vc0)=(14,2,0,0) */
/* (d1,vc1,d0,vc0)=(14,2,1,0) */
/* (d1,vc1,d0,vc0)=(14,3,0,0) */
/* (d1,vc1,d0,vc0)=(14,3,1,0) */
/* (d1,vc1,d0,vc0)=(15,0,0,0) */
/* (d1,vc1,d0,vc0)=(15,0,1,0) */
/* (d1,vc1,d0,vc0)=(15,1,0,0) */
/* (d1,vc1,d0,vc0)=(15,1,1,0) */
/* (d1,vc1,d0,vc0)=(15,2,0,0) */
/* (d1,vc1,d0,vc0)=(15,2,1,0) */
/* (d1,vc1,d0,vc0)=(15,3,0,0) */
/* (d1,vc1,d0,vc0)=(15,3,1,0) */
v_accvgpr_read_b32 v[vgprValuC+12], acc200 // copy acc to vreg[224]
v_accvgpr_read_b32 v[vgprValuC+13], acc216 // copy acc to vreg[225]
v_accvgpr_read_b32 v[vgprValuC+14], acc232 // copy acc to vreg[226]
v_accvgpr_read_b32 v[vgprValuC+15], acc248 // copy acc to vreg[227]
v_accvgpr_read_b32 v[vgprValuC+16], acc201 // copy acc to vreg[228]
v_accvgpr_read_b32 v[vgprValuC+17], acc217 // copy acc to vreg[229]
v_accvgpr_read_b32 v[vgprValuC+18], acc233 // copy acc to vreg[230]
v_accvgpr_read_b32 v[vgprValuC+19], acc249 // copy acc to vreg[231]
v_accvgpr_read_b32 v[vgprValuC+20], acc202 // copy acc to vreg[232]
v_accvgpr_read_b32 v[vgprValuC+21], acc218 // copy acc to vreg[233]
v_accvgpr_read_b32 v[vgprValuC+22], acc234 // copy acc to vreg[234]
v_accvgpr_read_b32 v[vgprValuC+23], acc250 // copy acc to vreg[235]
v_accvgpr_read_b32 v[vgprValuC+24], acc203 // copy acc to vreg[236]
v_accvgpr_read_b32 v[vgprValuC+25], acc219 // copy acc to vreg[237]
v_accvgpr_read_b32 v[vgprValuC+26], acc235 // copy acc to vreg[238]
v_accvgpr_read_b32 v[vgprValuC+27], acc251 // copy acc to vreg[239]
v_accvgpr_read_b32 v[vgprValuC+28], acc204 // copy acc to vreg[240]
v_accvgpr_read_b32 v[vgprValuC+29], acc220 // copy acc to vreg[241]
v_accvgpr_read_b32 v[vgprValuC+30], acc236 // copy acc to vreg[242]
v_accvgpr_read_b32 v[vgprValuC+31], acc252 // copy acc to vreg[243]
v_accvgpr_read_b32 v[vgprValuC+32], acc205 // copy acc to vreg[244]
v_accvgpr_read_b32 v[vgprValuC+33], acc221 // copy acc to vreg[245]
v_accvgpr_read_b32 v[vgprValuC+34], acc237 // copy acc to vreg[246]
v_accvgpr_read_b32 v[vgprValuC+35], acc253 // copy acc to vreg[247]
v_accvgpr_read_b32 v[vgprValuC+36], acc206 // copy acc to vreg[248]
v_accvgpr_read_b32 v[vgprValuC+37], acc222 // copy acc to vreg[249]
v_accvgpr_read_b32 v[vgprValuC+38], acc238 // copy acc to vreg[250]
v_accvgpr_read_b32 v[vgprValuC+39], acc254 // copy acc to vreg[251]
v_accvgpr_read_b32 v[vgprValuC+40], acc207 // copy acc to vreg[252]
v_accvgpr_read_b32 v[vgprValuC+41], acc223 // copy acc to vreg[253]
v_accvgpr_read_b32 v[vgprValuC+42], acc239 // copy acc to vreg[254]
v_accvgpr_read_b32 v[vgprValuC+43], acc255 // copy acc to vreg[255]
s_nop 1                                            // 2 wait states required before reading vgpr

/* rC *= alpha batchElements=[(14, 0, 0, 0), (14, 1, 0, 0), (14, 0, 1, 0), (14, 1, 1, 0), (14, 0, 2, 0), (14, 1, 2, 0), (14, 0, 3, 0), (14, 1, 3, 0), (15, 0, 0, 0), (15, 1, 0, 0), (15, 0, 1, 0), (15, 1, 1, 0), (15, 0, 2, 0), (15, 1, 2, 0), (15, 0, 3, 0), (15, 1, 3, 0)] */
v_mul_f32 v[vgprValuC+12], s[sgprAlpha], v[vgprValuC+12] // *= alpha
v_mul_f32 v[vgprValuC+13], s[sgprAlpha], v[vgprValuC+13] // *= alpha
	;; [unrolled: 1-line block ×32, first 2 shown]

/* apply mask, calc new C and issue writes */
v_mov_b32 v7, 0xffff0000                           // mask for pack two bfloat16 element to 32bit
v_mov_b32 v8, 0x7fff0000                           // fp32 Nan
v_mov_b32 v9, 0x7fff                               // rounding bias for bfloat16
v_cmp_u_f32 s[54:55], v[vgprValuC+12], v[vgprValuC+12] // check Nan
v_bfe_u32 v6, v[vgprValuC+12], 16, 1               // Non-Nan case: store lsb of bf16
v_add3_u32 v6, v[vgprValuC+12], v6, v9             // Non-Nan case: add lsb and the increment for rounding
v_cndmask_b32 v[vgprValuC+12], v6, v8, s[54:55]    // 
v_lshrrev_b32 v[vgprValuC+12], 16, v[vgprValuC+12] // convert C to bf16
v_cmp_u_f32 s[54:55], v[vgprValuC+13], v[vgprValuC+13] // check Nan
v_bfe_u32 v6, v[vgprValuC+13], 16, 1               // Non-Nan case: store lsb of bf16
v_add3_u32 v6, v[vgprValuC+13], v6, v9             // Non-Nan case: add lsb and the increment for rounding
v_cndmask_b32 v[vgprValuC+13], v6, v8, s[54:55]    // 
v_and_or_b32 v12, v[vgprValuC+13], v7, v[vgprValuC+12] // pack two bf16 to dword
v_cmp_u_f32 s[54:55], v[vgprValuC+14], v[vgprValuC+14] // check Nan
v_bfe_u32 v6, v[vgprValuC+14], 16, 1               // Non-Nan case: store lsb of bf16
v_add3_u32 v6, v[vgprValuC+14], v6, v9             // Non-Nan case: add lsb and the increment for rounding
v_cndmask_b32 v[vgprValuC+14], v6, v8, s[54:55]    // 
v_lshrrev_b32 v[vgprValuC+14], 16, v[vgprValuC+14] // convert C to bf16
v_cmp_u_f32 s[54:55], v[vgprValuC+15], v[vgprValuC+15] // check Nan
v_bfe_u32 v6, v[vgprValuC+15], 16, 1               // Non-Nan case: store lsb of bf16
v_add3_u32 v6, v[vgprValuC+15], v6, v9             // Non-Nan case: add lsb and the increment for rounding
v_cndmask_b32 v[vgprValuC+15], v6, v8, s[54:55]    // 
v_and_or_b32 v14, v[vgprValuC+15], v7, v[vgprValuC+14] // pack two bf16 to dword
	;; [unrolled: 10-line block ×16, first 2 shown]
s_mul_i32 s54, s[sgprStrideD1J], 10                // scale StrideD *= numRows(5) * bpe
s_add_u32  s[sgprSrdD+0], s[sgprSrdD+0], s54       // incToNextRow: gra SRD += inc(lower)
s_addc_u32  s[sgprSrdD+1], s[sgprSrdD+1], 0        // incToNextRow: gra SRD += inc(upper)
_buffer_store_b32 v12, v10, s[sgprSrdD:sgprSrdD+3], 0, offen, offset:0 // store D
_buffer_store_b32 v14, v10, s[sgprSrdD:sgprSrdD+3], 0, offen, offset:256 // store D
s_lshl_b32  s54, s[sgprStrideD1J], 1               // incToNextRow: Scale by BPE
s_add_u32  s[sgprSrdD+0], s[sgprSrdD+0], s54       // incToNextRow: gra SRD += inc(lower)
s_addc_u32  s[sgprSrdD+1], s[sgprSrdD+1], 0        // incToNextRow: gra SRD += inc(upper)
_buffer_store_b32 v16, v10, s[sgprSrdD:sgprSrdD+3], 0, offen, offset:0 // store D
_buffer_store_b32 v18, v10, s[sgprSrdD:sgprSrdD+3], 0, offen, offset:256 // store D
s_lshl_b32  s54, s[sgprStrideD1J], 1               // incToNextRow: Scale by BPE
	;; [unrolled: 5-line block ×3, first 2 shown]
s_add_u32  s[sgprSrdD+0], s[sgprSrdD+0], s54       // incToNextRow: gra SRD += inc(lower)
s_addc_u32  s[sgprSrdD+1], s[sgprSrdD+1], 0        // incToNextRow: gra SRD += inc(upper)
_buffer_store_b32 v24, v10, s[sgprSrdD:sgprSrdD+3], 0, offen, offset:0 // store D
_buffer_store_b32 v26, v10, s[sgprSrdD:sgprSrdD+3], 0, offen, offset:256 // store D
s_mul_i32 s54, s[sgprStrideD1J], 10                // scale StrideD *= numRows(5) * bpe
s_add_u32  s[sgprSrdD+0], s[sgprSrdD+0], s54       // incToNextRow: gra SRD += inc(lower)
s_addc_u32  s[sgprSrdD+1], s[sgprSrdD+1], 0        // incToNextRow: gra SRD += inc(upper)
_buffer_store_b32 v28, v10, s[sgprSrdD:sgprSrdD+3], 0, offen, offset:0 // store D
_buffer_store_b32 v30, v10, s[sgprSrdD:sgprSrdD+3], 0, offen, offset:256 // store D
s_lshl_b32  s54, s[sgprStrideD1J], 1               // incToNextRow: Scale by BPE
s_add_u32  s[sgprSrdD+0], s[sgprSrdD+0], s54       // incToNextRow: gra SRD += inc(lower)
s_addc_u32  s[sgprSrdD+1], s[sgprSrdD+1], 0        // incToNextRow: gra SRD += inc(upper)
_buffer_store_b32 v32, v10, s[sgprSrdD:sgprSrdD+3], 0, offen, offset:0 // store D
_buffer_store_b32 v34, v10, s[sgprSrdD:sgprSrdD+3], 0, offen, offset:256 // store D
s_lshl_b32  s54, s[sgprStrideD1J], 1               // incToNextRow: Scale by BPE
	;; [unrolled: 5-line block ×3, first 2 shown]
s_add_u32  s[sgprSrdD+0], s[sgprSrdD+0], s54       // incToNextRow: gra SRD += inc(lower)
s_addc_u32  s[sgprSrdD+1], s[sgprSrdD+1], 0        // incToNextRow: gra SRD += inc(upper)
_buffer_store_b32 v40, v10, s[sgprSrdD:sgprSrdD+3], 0, offen, offset:0 // store D
_buffer_store_b32 v42, v10, s[sgprSrdD:sgprSrdD+3], 0, offen, offset:256 // store D
s_nop 0                                            // 1 wait state required when next inst writes vgprs held by previous dwordx4 store inst
s_branch label_GW_End_44                           // jump to end
GW_B0_E1_36:

/* edge=1, allocate 6 sgpr. perBatchTmpS=4 perBatchMaskS=2 perElementMaskS=0 elementsPerBatch=16 */
/* optSingleColVgpr=0 optSharedColVgpr=0 optSGPRUsage=BufferLoad_Edge_Mask optSrdIncForRow=0 */
s_sleep 3 // optimization: sync and wait
s_barrier

/******************************************/
/* Global Write Alpha Edge Batch #0 (d1,d0,vc1,vc0) = */
/*    (0,0,0,0:vw2); (0,1,0,0:vw2); (0,0,1,0:vw2); (0,1,1,0:vw2); (0,0,2,0:vw2); (0,1,2,0:vw2); (0,0,3,0:vw2); (0,1,3,0:vw2); (1,0,0,0:vw2); (1,1,0,0:vw2); (1,0,1,0:vw2); (1,1,1,0:vw2); (1,0,2,0:vw2); (1,1,2,0:vw2); (1,0,3,0:vw2); (1,1,3,0:vw2) */
/******************************************/

/* calc coords, apply mask, and issue loads (if necessary) */
/* (d1,vc1,d0,vc0)=(0,0,0,0) */
v_cmp_lt_u32 s[54:55], v0, s[sgprSizeI]            // coord0 < size0
v_cmp_lt_u32 s[58:59], v1, s[sgprSizeJ]            // coord1 < size1
s_and_b64 s[58:59], s[54:55], s[58:59]             // in0 && in1
_v_add_lshl_u32 v10, v3, v0, 0x1                   // scaleToBpe: accumulate d0 lower and *= bpe into Cin addr
v_cndmask_b32 v10, -1, v10, s[58:59]               // LDD clip if OOB. offset
/* (d1,vc1,d0,vc0)=(0,0,1,0) */
s_mov_b32 s54, 128                                 // coordOffset0 d0=1 vc0=0
_v_add_co_u32 v4, vcc, v0, s54                     // coord0.2: coord0 += d0*sg0*VW + vc0
v_cmp_lt_u32 s[54:55], v4, s[sgprSizeI]            // coord0 < size0
v_cmp_lt_u32 s[58:59], v1, s[sgprSizeJ]            // coord1 < size1
s_and_b64 s[58:59], s[54:55], s[58:59]             // in0 && in1
_v_add_lshl_u32 v14, v3, v4, 0x1                   // scaleToBpe: accumulate d0 lower and *= bpe into Cin addr
v_cndmask_b32 v14, -1, v14, s[58:59]               // LDD clip if OOB. offset
/* (d1,vc1,d0,vc0)=(0,1,0,0) */
_v_add_co_u32 v1, vcc, v1, 1                       // coord1.1: coord1Vgpr += d1*sg1*VW + vc1

/* Fix for UseInitialStridesCD, emitAddressSetupCode */
_v_add_u32 v2, v2, s[sgprStrideC1J]                // ROWINC- Move cinRowPtr to next row
_v_add_u32 v3, v3, s[sgprStrideD1J]                // Move coutRowPtr to next row
v_cmp_lt_u32 s[54:55], v0, s[sgprSizeI]            // coord0 < size0
v_cmp_lt_u32 s[58:59], v1, s[sgprSizeJ]            // coord1 < size1
s_and_b64 s[58:59], s[54:55], s[58:59]             // in0 && in1
_v_add_lshl_u32 v18, v3, v0, 0x1                   // scaleToBpe: accumulate d0 lower and *= bpe into Cin addr
v_cndmask_b32 v18, -1, v18, s[58:59]               // LDD clip if OOB. offset
/* (d1,vc1,d0,vc0)=(0,1,1,0) */
s_mov_b32 s54, 128                                 // coordOffset0 d0=1 vc0=0
_v_add_co_u32 v4, vcc, v0, s54                     // coord0.2: coord0 += d0*sg0*VW + vc0
v_cmp_lt_u32 s[54:55], v4, s[sgprSizeI]            // coord0 < size0
v_cmp_lt_u32 s[58:59], v1, s[sgprSizeJ]            // coord1 < size1
s_and_b64 s[58:59], s[54:55], s[58:59]             // in0 && in1
_v_add_lshl_u32 v22, v3, v4, 0x1                   // scaleToBpe: accumulate d0 lower and *= bpe into Cin addr
v_cndmask_b32 v22, -1, v22, s[58:59]               // LDD clip if OOB. offset
/* (d1,vc1,d0,vc0)=(0,2,0,0) */
_v_add_co_u32 v1, vcc, v1, 1                       // coord1.1: coord1Vgpr += d1*sg1*VW + vc1

/* Fix for UseInitialStridesCD, emitAddressSetupCode */
_v_add_u32 v2, v2, s[sgprStrideC1J]                // ROWINC- Move cinRowPtr to next row
_v_add_u32 v3, v3, s[sgprStrideD1J]                // Move coutRowPtr to next row
	;; [unrolled: 19-line block ×3, first 2 shown]
v_cmp_lt_u32 s[54:55], v0, s[sgprSizeI]            // coord0 < size0
v_cmp_lt_u32 s[58:59], v1, s[sgprSizeJ]            // coord1 < size1
s_and_b64 s[58:59], s[54:55], s[58:59]             // in0 && in1
_v_add_lshl_u32 v34, v3, v0, 0x1                   // scaleToBpe: accumulate d0 lower and *= bpe into Cin addr
v_cndmask_b32 v34, -1, v34, s[58:59]               // LDD clip if OOB. offset
/* (d1,vc1,d0,vc0)=(0,3,1,0) */
s_mov_b32 s54, 128                                 // coordOffset0 d0=1 vc0=0
_v_add_co_u32 v4, vcc, v0, s54                     // coord0.2: coord0 += d0*sg0*VW + vc0
v_cmp_lt_u32 s[54:55], v4, s[sgprSizeI]            // coord0 < size0
v_cmp_lt_u32 s[58:59], v1, s[sgprSizeJ]            // coord1 < size1
s_and_b64 s[58:59], s[54:55], s[58:59]             // in0 && in1
_v_add_lshl_u32 v38, v3, v4, 0x1                   // scaleToBpe: accumulate d0 lower and *= bpe into Cin addr
v_cndmask_b32 v38, -1, v38, s[58:59]               // LDD clip if OOB. offset
/* (d1,vc1,d0,vc0)=(1,0,0,0) */
_v_add_co_u32 v1, vcc, v1, 5                       // coord1.1: coord1Vgpr += d1*sg1*VW + vc1

/* Fix for UseInitialStridesCD, emitAddressSetupCode */
s_mul_i32 s54, s[sgprStrideC1J], 5                 // scale stride
_v_add_u32 v2, v2, s54                             // ROWINC- Move cinRowPtr to next row
s_mul_i32 s54, s[sgprStrideD1J], 5                 // scale stride
_v_add_u32 v3, v3, s54                             // Move coutRowPtr to next row
v_cmp_lt_u32 s[54:55], v0, s[sgprSizeI]            // coord0 < size0
v_cmp_lt_u32 s[58:59], v1, s[sgprSizeJ]            // coord1 < size1
s_and_b64 s[58:59], s[54:55], s[58:59]             // in0 && in1
_v_add_lshl_u32 v42, v3, v0, 0x1                   // scaleToBpe: accumulate d0 lower and *= bpe into Cin addr
v_cndmask_b32 v42, -1, v42, s[58:59]               // LDD clip if OOB. offset
/* (d1,vc1,d0,vc0)=(1,0,1,0) */
s_mov_b32 s54, 128                                 // coordOffset0 d0=1 vc0=0
_v_add_co_u32 v4, vcc, v0, s54                     // coord0.2: coord0 += d0*sg0*VW + vc0
v_cmp_lt_u32 s[54:55], v4, s[sgprSizeI]            // coord0 < size0
v_cmp_lt_u32 s[58:59], v1, s[sgprSizeJ]            // coord1 < size1
s_and_b64 s[58:59], s[54:55], s[58:59]             // in0 && in1
_v_add_lshl_u32 v46, v3, v4, 0x1                   // scaleToBpe: accumulate d0 lower and *= bpe into Cin addr
v_cndmask_b32 v46, -1, v46, s[58:59]               // LDD clip if OOB. offset
/* (d1,vc1,d0,vc0)=(1,1,0,0) */
_v_add_co_u32 v1, vcc, v1, 1                       // coord1.1: coord1Vgpr += d1*sg1*VW + vc1

/* Fix for UseInitialStridesCD, emitAddressSetupCode */
_v_add_u32 v2, v2, s[sgprStrideC1J]                // ROWINC- Move cinRowPtr to next row
_v_add_u32 v3, v3, s[sgprStrideD1J]                // Move coutRowPtr to next row
v_cmp_lt_u32 s[54:55], v0, s[sgprSizeI]            // coord0 < size0
v_cmp_lt_u32 s[58:59], v1, s[sgprSizeJ]            // coord1 < size1
s_and_b64 s[58:59], s[54:55], s[58:59]             // in0 && in1
_v_add_lshl_u32 v50, v3, v0, 0x1                   // scaleToBpe: accumulate d0 lower and *= bpe into Cin addr
v_cndmask_b32 v50, -1, v50, s[58:59]               // LDD clip if OOB. offset
/* (d1,vc1,d0,vc0)=(1,1,1,0) */
s_mov_b32 s54, 128                                 // coordOffset0 d0=1 vc0=0
_v_add_co_u32 v4, vcc, v0, s54                     // coord0.2: coord0 += d0*sg0*VW + vc0
v_cmp_lt_u32 s[54:55], v4, s[sgprSizeI]            // coord0 < size0
v_cmp_lt_u32 s[58:59], v1, s[sgprSizeJ]            // coord1 < size1
s_and_b64 s[58:59], s[54:55], s[58:59]             // in0 && in1
_v_add_lshl_u32 v54, v3, v4, 0x1                   // scaleToBpe: accumulate d0 lower and *= bpe into Cin addr
v_cndmask_b32 v54, -1, v54, s[58:59]               // LDD clip if OOB. offset
/* (d1,vc1,d0,vc0)=(1,2,0,0) */
_v_add_co_u32 v1, vcc, v1, 1                       // coord1.1: coord1Vgpr += d1*sg1*VW + vc1

/* Fix for UseInitialStridesCD, emitAddressSetupCode */
_v_add_u32 v2, v2, s[sgprStrideC1J]                // ROWINC- Move cinRowPtr to next row
_v_add_u32 v3, v3, s[sgprStrideD1J]                // Move coutRowPtr to next row
	;; [unrolled: 19-line block ×3, first 2 shown]
v_cmp_lt_u32 s[54:55], v0, s[sgprSizeI]            // coord0 < size0
v_cmp_lt_u32 s[58:59], v1, s[sgprSizeJ]            // coord1 < size1
s_and_b64 s[58:59], s[54:55], s[58:59]             // in0 && in1
_v_add_lshl_u32 v66, v3, v0, 0x1                   // scaleToBpe: accumulate d0 lower and *= bpe into Cin addr
v_cndmask_b32 v66, -1, v66, s[58:59]               // LDD clip if OOB. offset
/* (d1,vc1,d0,vc0)=(1,3,1,0) */
s_mov_b32 s54, 128                                 // coordOffset0 d0=1 vc0=0
_v_add_co_u32 v4, vcc, v0, s54                     // coord0.2: coord0 += d0*sg0*VW + vc0
v_cmp_lt_u32 s[54:55], v4, s[sgprSizeI]            // coord0 < size0
v_cmp_lt_u32 s[58:59], v1, s[sgprSizeJ]            // coord1 < size1
s_and_b64 s[58:59], s[54:55], s[58:59]             // in0 && in1
_v_add_lshl_u32 v70, v3, v4, 0x1                   // scaleToBpe: accumulate d0 lower and *= bpe into Cin addr
v_cndmask_b32 v70, -1, v70, s[58:59]               // LDD clip if OOB. offset
v_accvgpr_read_b32 v[vgprValuC+12], acc0 // copy acc to vreg[0]
v_accvgpr_read_b32 v[vgprValuC+13], acc16 // copy acc to vreg[1]
v_accvgpr_read_b32 v[vgprValuC+16], acc32 // copy acc to vreg[2]
v_accvgpr_read_b32 v[vgprValuC+17], acc48 // copy acc to vreg[3]
v_accvgpr_read_b32 v[vgprValuC+20], acc1 // copy acc to vreg[4]
v_accvgpr_read_b32 v[vgprValuC+21], acc17 // copy acc to vreg[5]
v_accvgpr_read_b32 v[vgprValuC+24], acc33 // copy acc to vreg[6]
v_accvgpr_read_b32 v[vgprValuC+25], acc49 // copy acc to vreg[7]
v_accvgpr_read_b32 v[vgprValuC+28], acc2 // copy acc to vreg[8]
v_accvgpr_read_b32 v[vgprValuC+29], acc18 // copy acc to vreg[9]
v_accvgpr_read_b32 v[vgprValuC+32], acc34 // copy acc to vreg[10]
v_accvgpr_read_b32 v[vgprValuC+33], acc50 // copy acc to vreg[11]
v_accvgpr_read_b32 v[vgprValuC+36], acc3 // copy acc to vreg[12]
v_accvgpr_read_b32 v[vgprValuC+37], acc19 // copy acc to vreg[13]
v_accvgpr_read_b32 v[vgprValuC+40], acc35 // copy acc to vreg[14]
v_accvgpr_read_b32 v[vgprValuC+41], acc51 // copy acc to vreg[15]
v_accvgpr_read_b32 v[vgprValuC+44], acc4 // copy acc to vreg[16]
v_accvgpr_read_b32 v[vgprValuC+45], acc20 // copy acc to vreg[17]
v_accvgpr_read_b32 v[vgprValuC+48], acc36 // copy acc to vreg[18]
v_accvgpr_read_b32 v[vgprValuC+49], acc52 // copy acc to vreg[19]
v_accvgpr_read_b32 v[vgprValuC+52], acc5 // copy acc to vreg[20]
v_accvgpr_read_b32 v[vgprValuC+53], acc21 // copy acc to vreg[21]
v_accvgpr_read_b32 v[vgprValuC+56], acc37 // copy acc to vreg[22]
v_accvgpr_read_b32 v[vgprValuC+57], acc53 // copy acc to vreg[23]
v_accvgpr_read_b32 v[vgprValuC+60], acc6 // copy acc to vreg[24]
v_accvgpr_read_b32 v[vgprValuC+61], acc22 // copy acc to vreg[25]
v_accvgpr_read_b32 v[vgprValuC+64], acc38 // copy acc to vreg[26]
v_accvgpr_read_b32 v[vgprValuC+65], acc54 // copy acc to vreg[27]
v_accvgpr_read_b32 v[vgprValuC+68], acc7 // copy acc to vreg[28]
v_accvgpr_read_b32 v[vgprValuC+69], acc23 // copy acc to vreg[29]
v_accvgpr_read_b32 v[vgprValuC+72], acc39 // copy acc to vreg[30]
v_accvgpr_read_b32 v[vgprValuC+73], acc55 // copy acc to vreg[31]
s_nop 1                                            // 2 wait states required before reading vgpr

/* rC *= alpha batchElements=[(0, 0, 0, 0), (0, 1, 0, 0), (0, 0, 1, 0), (0, 1, 1, 0), (0, 0, 2, 0), (0, 1, 2, 0), (0, 0, 3, 0), (0, 1, 3, 0), (1, 0, 0, 0), (1, 1, 0, 0), (1, 0, 1, 0), (1, 1, 1, 0), (1, 0, 2, 0), (1, 1, 2, 0), (1, 0, 3, 0), (1, 1, 3, 0)] */
v_mul_f32 v[vgprValuC+12], s[sgprAlpha], v[vgprValuC+12] // *= alpha
v_mul_f32 v[vgprValuC+13], s[sgprAlpha], v[vgprValuC+13] // *= alpha
	;; [unrolled: 1-line block ×32, first 2 shown]

/* apply mask, calc new C and issue writes */
v_mov_b32 v7, 0xffff0000                           // mask for pack two bfloat16 element to 32bit
v_mov_b32 v8, 0x7fff0000                           // fp32 Nan
v_mov_b32 v9, 0x7fff                               // rounding bias for bfloat16
v_cmp_u_f32 s[54:55], v[vgprValuC+12], v[vgprValuC+12] // check Nan
v_bfe_u32 v6, v[vgprValuC+12], 16, 1               // Non-Nan case: store lsb of bf16
v_add3_u32 v6, v[vgprValuC+12], v6, v9             // Non-Nan case: add lsb and the increment for rounding
v_cndmask_b32 v[vgprValuC+12], v6, v8, s[54:55]    // 
v_lshrrev_b32 v[vgprValuC+12], 16, v[vgprValuC+12] // convert C to bf16
v_cmp_u_f32 s[54:55], v[vgprValuC+13], v[vgprValuC+13] // check Nan
v_bfe_u32 v6, v[vgprValuC+13], 16, 1               // Non-Nan case: store lsb of bf16
v_add3_u32 v6, v[vgprValuC+13], v6, v9             // Non-Nan case: add lsb and the increment for rounding
v_cndmask_b32 v[vgprValuC+13], v6, v8, s[54:55]    // 
v_and_or_b32 v12, v[vgprValuC+13], v7, v[vgprValuC+12] // pack two bf16 to dword
v_cmp_u_f32 s[54:55], v[vgprValuC+16], v[vgprValuC+16] // check Nan
v_bfe_u32 v6, v[vgprValuC+16], 16, 1               // Non-Nan case: store lsb of bf16
v_add3_u32 v6, v[vgprValuC+16], v6, v9             // Non-Nan case: add lsb and the increment for rounding
v_cndmask_b32 v[vgprValuC+16], v6, v8, s[54:55]    // 
v_lshrrev_b32 v[vgprValuC+16], 16, v[vgprValuC+16] // convert C to bf16
v_cmp_u_f32 s[54:55], v[vgprValuC+17], v[vgprValuC+17] // check Nan
v_bfe_u32 v6, v[vgprValuC+17], 16, 1               // Non-Nan case: store lsb of bf16
v_add3_u32 v6, v[vgprValuC+17], v6, v9             // Non-Nan case: add lsb and the increment for rounding
v_cndmask_b32 v[vgprValuC+17], v6, v8, s[54:55]    // 
v_and_or_b32 v16, v[vgprValuC+17], v7, v[vgprValuC+16] // pack two bf16 to dword
	;; [unrolled: 10-line block ×16, first 2 shown]
_buffer_store_b32 v12, v10, s[sgprSrdD:sgprSrdD+3], 0, offen, offset:0 // store D
_buffer_store_b32 v16, v14, s[sgprSrdD:sgprSrdD+3], 0, offen, offset:0 // store D
_buffer_store_b32 v20, v18, s[sgprSrdD:sgprSrdD+3], 0, offen, offset:0 // store D
_buffer_store_b32 v24, v22, s[sgprSrdD:sgprSrdD+3], 0, offen, offset:0 // store D
_buffer_store_b32 v28, v26, s[sgprSrdD:sgprSrdD+3], 0, offen, offset:0 // store D
_buffer_store_b32 v32, v30, s[sgprSrdD:sgprSrdD+3], 0, offen, offset:0 // store D
_buffer_store_b32 v36, v34, s[sgprSrdD:sgprSrdD+3], 0, offen, offset:0 // store D
_buffer_store_b32 v40, v38, s[sgprSrdD:sgprSrdD+3], 0, offen, offset:0 // store D
_buffer_store_b32 v44, v42, s[sgprSrdD:sgprSrdD+3], 0, offen, offset:0 // store D
_buffer_store_b32 v48, v46, s[sgprSrdD:sgprSrdD+3], 0, offen, offset:0 // store D
_buffer_store_b32 v52, v50, s[sgprSrdD:sgprSrdD+3], 0, offen, offset:0 // store D
_buffer_store_b32 v56, v54, s[sgprSrdD:sgprSrdD+3], 0, offen, offset:0 // store D
_buffer_store_b32 v60, v58, s[sgprSrdD:sgprSrdD+3], 0, offen, offset:0 // store D
_buffer_store_b32 v64, v62, s[sgprSrdD:sgprSrdD+3], 0, offen, offset:0 // store D
_buffer_store_b32 v68, v66, s[sgprSrdD:sgprSrdD+3], 0, offen, offset:0 // store D
_buffer_store_b32 v72, v70, s[sgprSrdD:sgprSrdD+3], 0, offen, offset:0 // store D
s_nop 0                                            // 1 wait state required when next inst writes vgprs held by previous dwordx4 store inst
/* optSingleColVgpr=0 optSharedColVgpr=0 optSGPRUsage=BufferLoad_Edge_Mask optSrdIncForRow=0 */
s_sleep 3 // optimization: sync and wait
s_barrier

/******************************************/
/* Global Write Alpha Edge Batch #1 (d1,d0,vc1,vc0) = */
/*    (2,0,0,0:vw2); (2,1,0,0:vw2); (2,0,1,0:vw2); (2,1,1,0:vw2); (2,0,2,0:vw2); (2,1,2,0:vw2); (2,0,3,0:vw2); (2,1,3,0:vw2); (3,0,0,0:vw2); (3,1,0,0:vw2); (3,0,1,0:vw2); (3,1,1,0:vw2); (3,0,2,0:vw2); (3,1,2,0:vw2); (3,0,3,0:vw2); (3,1,3,0:vw2) */
/******************************************/

/* calc coords, apply mask, and issue loads (if necessary) */
/* (d1,vc1,d0,vc0)=(2,0,0,0) */
_v_add_co_u32 v1, vcc, v1, 5                       // coord1.1: coord1Vgpr += d1*sg1*VW + vc1

/* Fix for UseInitialStridesCD, emitAddressSetupCode */
s_mul_i32 s54, s[sgprStrideC1J], 5                 // scale stride
_v_add_u32 v2, v2, s54                             // ROWINC- Move cinRowPtr to next row
s_mul_i32 s54, s[sgprStrideD1J], 5                 // scale stride
_v_add_u32 v3, v3, s54                             // Move coutRowPtr to next row
v_cmp_lt_u32 s[54:55], v0, s[sgprSizeI]            // coord0 < size0
v_cmp_lt_u32 s[58:59], v1, s[sgprSizeJ]            // coord1 < size1
s_and_b64 s[58:59], s[54:55], s[58:59]             // in0 && in1
_v_add_lshl_u32 v10, v3, v0, 0x1                   // scaleToBpe: accumulate d0 lower and *= bpe into Cin addr
v_cndmask_b32 v10, -1, v10, s[58:59]               // LDD clip if OOB. offset
/* (d1,vc1,d0,vc0)=(2,0,1,0) */
s_mov_b32 s54, 128                                 // coordOffset0 d0=1 vc0=0
_v_add_co_u32 v4, vcc, v0, s54                     // coord0.2: coord0 += d0*sg0*VW + vc0
v_cmp_lt_u32 s[54:55], v4, s[sgprSizeI]            // coord0 < size0
v_cmp_lt_u32 s[58:59], v1, s[sgprSizeJ]            // coord1 < size1
s_and_b64 s[58:59], s[54:55], s[58:59]             // in0 && in1
_v_add_lshl_u32 v14, v3, v4, 0x1                   // scaleToBpe: accumulate d0 lower and *= bpe into Cin addr
v_cndmask_b32 v14, -1, v14, s[58:59]               // LDD clip if OOB. offset
/* (d1,vc1,d0,vc0)=(2,1,0,0) */
_v_add_co_u32 v1, vcc, v1, 1                       // coord1.1: coord1Vgpr += d1*sg1*VW + vc1

/* Fix for UseInitialStridesCD, emitAddressSetupCode */
_v_add_u32 v2, v2, s[sgprStrideC1J]                // ROWINC- Move cinRowPtr to next row
_v_add_u32 v3, v3, s[sgprStrideD1J]                // Move coutRowPtr to next row
v_cmp_lt_u32 s[54:55], v0, s[sgprSizeI]            // coord0 < size0
v_cmp_lt_u32 s[58:59], v1, s[sgprSizeJ]            // coord1 < size1
s_and_b64 s[58:59], s[54:55], s[58:59]             // in0 && in1
_v_add_lshl_u32 v18, v3, v0, 0x1                   // scaleToBpe: accumulate d0 lower and *= bpe into Cin addr
v_cndmask_b32 v18, -1, v18, s[58:59]               // LDD clip if OOB. offset
/* (d1,vc1,d0,vc0)=(2,1,1,0) */
s_mov_b32 s54, 128                                 // coordOffset0 d0=1 vc0=0
_v_add_co_u32 v4, vcc, v0, s54                     // coord0.2: coord0 += d0*sg0*VW + vc0
v_cmp_lt_u32 s[54:55], v4, s[sgprSizeI]            // coord0 < size0
v_cmp_lt_u32 s[58:59], v1, s[sgprSizeJ]            // coord1 < size1
s_and_b64 s[58:59], s[54:55], s[58:59]             // in0 && in1
_v_add_lshl_u32 v22, v3, v4, 0x1                   // scaleToBpe: accumulate d0 lower and *= bpe into Cin addr
v_cndmask_b32 v22, -1, v22, s[58:59]               // LDD clip if OOB. offset
/* (d1,vc1,d0,vc0)=(2,2,0,0) */
_v_add_co_u32 v1, vcc, v1, 1                       // coord1.1: coord1Vgpr += d1*sg1*VW + vc1

/* Fix for UseInitialStridesCD, emitAddressSetupCode */
_v_add_u32 v2, v2, s[sgprStrideC1J]                // ROWINC- Move cinRowPtr to next row
_v_add_u32 v3, v3, s[sgprStrideD1J]                // Move coutRowPtr to next row
	;; [unrolled: 19-line block ×3, first 2 shown]
v_cmp_lt_u32 s[54:55], v0, s[sgprSizeI]            // coord0 < size0
v_cmp_lt_u32 s[58:59], v1, s[sgprSizeJ]            // coord1 < size1
s_and_b64 s[58:59], s[54:55], s[58:59]             // in0 && in1
_v_add_lshl_u32 v34, v3, v0, 0x1                   // scaleToBpe: accumulate d0 lower and *= bpe into Cin addr
v_cndmask_b32 v34, -1, v34, s[58:59]               // LDD clip if OOB. offset
/* (d1,vc1,d0,vc0)=(2,3,1,0) */
s_mov_b32 s54, 128                                 // coordOffset0 d0=1 vc0=0
_v_add_co_u32 v4, vcc, v0, s54                     // coord0.2: coord0 += d0*sg0*VW + vc0
v_cmp_lt_u32 s[54:55], v4, s[sgprSizeI]            // coord0 < size0
v_cmp_lt_u32 s[58:59], v1, s[sgprSizeJ]            // coord1 < size1
s_and_b64 s[58:59], s[54:55], s[58:59]             // in0 && in1
_v_add_lshl_u32 v38, v3, v4, 0x1                   // scaleToBpe: accumulate d0 lower and *= bpe into Cin addr
v_cndmask_b32 v38, -1, v38, s[58:59]               // LDD clip if OOB. offset
/* (d1,vc1,d0,vc0)=(3,0,0,0) */
_v_add_co_u32 v1, vcc, v1, 5                       // coord1.1: coord1Vgpr += d1*sg1*VW + vc1

/* Fix for UseInitialStridesCD, emitAddressSetupCode */
s_mul_i32 s54, s[sgprStrideC1J], 5                 // scale stride
_v_add_u32 v2, v2, s54                             // ROWINC- Move cinRowPtr to next row
s_mul_i32 s54, s[sgprStrideD1J], 5                 // scale stride
_v_add_u32 v3, v3, s54                             // Move coutRowPtr to next row
v_cmp_lt_u32 s[54:55], v0, s[sgprSizeI]            // coord0 < size0
v_cmp_lt_u32 s[58:59], v1, s[sgprSizeJ]            // coord1 < size1
s_and_b64 s[58:59], s[54:55], s[58:59]             // in0 && in1
_v_add_lshl_u32 v42, v3, v0, 0x1                   // scaleToBpe: accumulate d0 lower and *= bpe into Cin addr
v_cndmask_b32 v42, -1, v42, s[58:59]               // LDD clip if OOB. offset
/* (d1,vc1,d0,vc0)=(3,0,1,0) */
s_mov_b32 s54, 128                                 // coordOffset0 d0=1 vc0=0
_v_add_co_u32 v4, vcc, v0, s54                     // coord0.2: coord0 += d0*sg0*VW + vc0
v_cmp_lt_u32 s[54:55], v4, s[sgprSizeI]            // coord0 < size0
v_cmp_lt_u32 s[58:59], v1, s[sgprSizeJ]            // coord1 < size1
s_and_b64 s[58:59], s[54:55], s[58:59]             // in0 && in1
_v_add_lshl_u32 v46, v3, v4, 0x1                   // scaleToBpe: accumulate d0 lower and *= bpe into Cin addr
v_cndmask_b32 v46, -1, v46, s[58:59]               // LDD clip if OOB. offset
/* (d1,vc1,d0,vc0)=(3,1,0,0) */
_v_add_co_u32 v1, vcc, v1, 1                       // coord1.1: coord1Vgpr += d1*sg1*VW + vc1

/* Fix for UseInitialStridesCD, emitAddressSetupCode */
_v_add_u32 v2, v2, s[sgprStrideC1J]                // ROWINC- Move cinRowPtr to next row
_v_add_u32 v3, v3, s[sgprStrideD1J]                // Move coutRowPtr to next row
v_cmp_lt_u32 s[54:55], v0, s[sgprSizeI]            // coord0 < size0
v_cmp_lt_u32 s[58:59], v1, s[sgprSizeJ]            // coord1 < size1
s_and_b64 s[58:59], s[54:55], s[58:59]             // in0 && in1
_v_add_lshl_u32 v50, v3, v0, 0x1                   // scaleToBpe: accumulate d0 lower and *= bpe into Cin addr
v_cndmask_b32 v50, -1, v50, s[58:59]               // LDD clip if OOB. offset
/* (d1,vc1,d0,vc0)=(3,1,1,0) */
s_mov_b32 s54, 128                                 // coordOffset0 d0=1 vc0=0
_v_add_co_u32 v4, vcc, v0, s54                     // coord0.2: coord0 += d0*sg0*VW + vc0
v_cmp_lt_u32 s[54:55], v4, s[sgprSizeI]            // coord0 < size0
v_cmp_lt_u32 s[58:59], v1, s[sgprSizeJ]            // coord1 < size1
s_and_b64 s[58:59], s[54:55], s[58:59]             // in0 && in1
_v_add_lshl_u32 v54, v3, v4, 0x1                   // scaleToBpe: accumulate d0 lower and *= bpe into Cin addr
v_cndmask_b32 v54, -1, v54, s[58:59]               // LDD clip if OOB. offset
/* (d1,vc1,d0,vc0)=(3,2,0,0) */
_v_add_co_u32 v1, vcc, v1, 1                       // coord1.1: coord1Vgpr += d1*sg1*VW + vc1

/* Fix for UseInitialStridesCD, emitAddressSetupCode */
_v_add_u32 v2, v2, s[sgprStrideC1J]                // ROWINC- Move cinRowPtr to next row
_v_add_u32 v3, v3, s[sgprStrideD1J]                // Move coutRowPtr to next row
	;; [unrolled: 19-line block ×3, first 2 shown]
v_cmp_lt_u32 s[54:55], v0, s[sgprSizeI]            // coord0 < size0
v_cmp_lt_u32 s[58:59], v1, s[sgprSizeJ]            // coord1 < size1
s_and_b64 s[58:59], s[54:55], s[58:59]             // in0 && in1
_v_add_lshl_u32 v66, v3, v0, 0x1                   // scaleToBpe: accumulate d0 lower and *= bpe into Cin addr
v_cndmask_b32 v66, -1, v66, s[58:59]               // LDD clip if OOB. offset
/* (d1,vc1,d0,vc0)=(3,3,1,0) */
s_mov_b32 s54, 128                                 // coordOffset0 d0=1 vc0=0
_v_add_co_u32 v4, vcc, v0, s54                     // coord0.2: coord0 += d0*sg0*VW + vc0
v_cmp_lt_u32 s[54:55], v4, s[sgprSizeI]            // coord0 < size0
v_cmp_lt_u32 s[58:59], v1, s[sgprSizeJ]            // coord1 < size1
s_and_b64 s[58:59], s[54:55], s[58:59]             // in0 && in1
_v_add_lshl_u32 v70, v3, v4, 0x1                   // scaleToBpe: accumulate d0 lower and *= bpe into Cin addr
v_cndmask_b32 v70, -1, v70, s[58:59]               // LDD clip if OOB. offset
v_accvgpr_read_b32 v[vgprValuC+12], acc8 // copy acc to vreg[32]
v_accvgpr_read_b32 v[vgprValuC+13], acc24 // copy acc to vreg[33]
v_accvgpr_read_b32 v[vgprValuC+16], acc40 // copy acc to vreg[34]
v_accvgpr_read_b32 v[vgprValuC+17], acc56 // copy acc to vreg[35]
v_accvgpr_read_b32 v[vgprValuC+20], acc9 // copy acc to vreg[36]
v_accvgpr_read_b32 v[vgprValuC+21], acc25 // copy acc to vreg[37]
v_accvgpr_read_b32 v[vgprValuC+24], acc41 // copy acc to vreg[38]
v_accvgpr_read_b32 v[vgprValuC+25], acc57 // copy acc to vreg[39]
v_accvgpr_read_b32 v[vgprValuC+28], acc10 // copy acc to vreg[40]
v_accvgpr_read_b32 v[vgprValuC+29], acc26 // copy acc to vreg[41]
v_accvgpr_read_b32 v[vgprValuC+32], acc42 // copy acc to vreg[42]
v_accvgpr_read_b32 v[vgprValuC+33], acc58 // copy acc to vreg[43]
v_accvgpr_read_b32 v[vgprValuC+36], acc11 // copy acc to vreg[44]
v_accvgpr_read_b32 v[vgprValuC+37], acc27 // copy acc to vreg[45]
v_accvgpr_read_b32 v[vgprValuC+40], acc43 // copy acc to vreg[46]
v_accvgpr_read_b32 v[vgprValuC+41], acc59 // copy acc to vreg[47]
v_accvgpr_read_b32 v[vgprValuC+44], acc12 // copy acc to vreg[48]
v_accvgpr_read_b32 v[vgprValuC+45], acc28 // copy acc to vreg[49]
v_accvgpr_read_b32 v[vgprValuC+48], acc44 // copy acc to vreg[50]
v_accvgpr_read_b32 v[vgprValuC+49], acc60 // copy acc to vreg[51]
v_accvgpr_read_b32 v[vgprValuC+52], acc13 // copy acc to vreg[52]
v_accvgpr_read_b32 v[vgprValuC+53], acc29 // copy acc to vreg[53]
v_accvgpr_read_b32 v[vgprValuC+56], acc45 // copy acc to vreg[54]
v_accvgpr_read_b32 v[vgprValuC+57], acc61 // copy acc to vreg[55]
v_accvgpr_read_b32 v[vgprValuC+60], acc14 // copy acc to vreg[56]
v_accvgpr_read_b32 v[vgprValuC+61], acc30 // copy acc to vreg[57]
v_accvgpr_read_b32 v[vgprValuC+64], acc46 // copy acc to vreg[58]
v_accvgpr_read_b32 v[vgprValuC+65], acc62 // copy acc to vreg[59]
v_accvgpr_read_b32 v[vgprValuC+68], acc15 // copy acc to vreg[60]
v_accvgpr_read_b32 v[vgprValuC+69], acc31 // copy acc to vreg[61]
v_accvgpr_read_b32 v[vgprValuC+72], acc47 // copy acc to vreg[62]
v_accvgpr_read_b32 v[vgprValuC+73], acc63 // copy acc to vreg[63]
s_nop 1                                            // 2 wait states required before reading vgpr

/* rC *= alpha batchElements=[(2, 0, 0, 0), (2, 1, 0, 0), (2, 0, 1, 0), (2, 1, 1, 0), (2, 0, 2, 0), (2, 1, 2, 0), (2, 0, 3, 0), (2, 1, 3, 0), (3, 0, 0, 0), (3, 1, 0, 0), (3, 0, 1, 0), (3, 1, 1, 0), (3, 0, 2, 0), (3, 1, 2, 0), (3, 0, 3, 0), (3, 1, 3, 0)] */
v_mul_f32 v[vgprValuC+12], s[sgprAlpha], v[vgprValuC+12] // *= alpha
v_mul_f32 v[vgprValuC+13], s[sgprAlpha], v[vgprValuC+13] // *= alpha
	;; [unrolled: 1-line block ×32, first 2 shown]

/* apply mask, calc new C and issue writes */
v_mov_b32 v7, 0xffff0000                           // mask for pack two bfloat16 element to 32bit
v_mov_b32 v8, 0x7fff0000                           // fp32 Nan
v_mov_b32 v9, 0x7fff                               // rounding bias for bfloat16
v_cmp_u_f32 s[54:55], v[vgprValuC+12], v[vgprValuC+12] // check Nan
v_bfe_u32 v6, v[vgprValuC+12], 16, 1               // Non-Nan case: store lsb of bf16
v_add3_u32 v6, v[vgprValuC+12], v6, v9             // Non-Nan case: add lsb and the increment for rounding
v_cndmask_b32 v[vgprValuC+12], v6, v8, s[54:55]    // 
v_lshrrev_b32 v[vgprValuC+12], 16, v[vgprValuC+12] // convert C to bf16
v_cmp_u_f32 s[54:55], v[vgprValuC+13], v[vgprValuC+13] // check Nan
v_bfe_u32 v6, v[vgprValuC+13], 16, 1               // Non-Nan case: store lsb of bf16
v_add3_u32 v6, v[vgprValuC+13], v6, v9             // Non-Nan case: add lsb and the increment for rounding
v_cndmask_b32 v[vgprValuC+13], v6, v8, s[54:55]    // 
v_and_or_b32 v12, v[vgprValuC+13], v7, v[vgprValuC+12] // pack two bf16 to dword
v_cmp_u_f32 s[54:55], v[vgprValuC+16], v[vgprValuC+16] // check Nan
v_bfe_u32 v6, v[vgprValuC+16], 16, 1               // Non-Nan case: store lsb of bf16
v_add3_u32 v6, v[vgprValuC+16], v6, v9             // Non-Nan case: add lsb and the increment for rounding
v_cndmask_b32 v[vgprValuC+16], v6, v8, s[54:55]    // 
v_lshrrev_b32 v[vgprValuC+16], 16, v[vgprValuC+16] // convert C to bf16
v_cmp_u_f32 s[54:55], v[vgprValuC+17], v[vgprValuC+17] // check Nan
v_bfe_u32 v6, v[vgprValuC+17], 16, 1               // Non-Nan case: store lsb of bf16
v_add3_u32 v6, v[vgprValuC+17], v6, v9             // Non-Nan case: add lsb and the increment for rounding
v_cndmask_b32 v[vgprValuC+17], v6, v8, s[54:55]    // 
v_and_or_b32 v16, v[vgprValuC+17], v7, v[vgprValuC+16] // pack two bf16 to dword
v_cmp_u_f32 s[54:55], v[vgprValuC+20], v[vgprValuC+20] // check Nan
v_bfe_u32 v6, v[vgprValuC+20], 16, 1               // Non-Nan case: store lsb of bf16
v_add3_u32 v6, v[vgprValuC+20], v6, v9             // Non-Nan case: add lsb and the increment for rounding
v_cndmask_b32 v[vgprValuC+20], v6, v8, s[54:55]    // 
v_lshrrev_b32 v[vgprValuC+20], 16, v[vgprValuC+20] // convert C to bf16
v_cmp_u_f32 s[54:55], v[vgprValuC+21], v[vgprValuC+21] // check Nan
v_bfe_u32 v6, v[vgprValuC+21], 16, 1               // Non-Nan case: store lsb of bf16
v_add3_u32 v6, v[vgprValuC+21], v6, v9             // Non-Nan case: add lsb and the increment for rounding
v_cndmask_b32 v[vgprValuC+21], v6, v8, s[54:55]    // 
v_and_or_b32 v20, v[vgprValuC+21], v7, v[vgprValuC+20] // pack two bf16 to dword
v_cmp_u_f32 s[54:55], v[vgprValuC+24], v[vgprValuC+24] // check Nan
v_bfe_u32 v6, v[vgprValuC+24], 16, 1               // Non-Nan case: store lsb of bf16
v_add3_u32 v6, v[vgprValuC+24], v6, v9             // Non-Nan case: add lsb and the increment for rounding
v_cndmask_b32 v[vgprValuC+24], v6, v8, s[54:55]    // 
v_lshrrev_b32 v[vgprValuC+24], 16, v[vgprValuC+24] // convert C to bf16
v_cmp_u_f32 s[54:55], v[vgprValuC+25], v[vgprValuC+25] // check Nan
v_bfe_u32 v6, v[vgprValuC+25], 16, 1               // Non-Nan case: store lsb of bf16
v_add3_u32 v6, v[vgprValuC+25], v6, v9             // Non-Nan case: add lsb and the increment for rounding
v_cndmask_b32 v[vgprValuC+25], v6, v8, s[54:55]    // 
v_and_or_b32 v24, v[vgprValuC+25], v7, v[vgprValuC+24] // pack two bf16 to dword
v_cmp_u_f32 s[54:55], v[vgprValuC+28], v[vgprValuC+28] // check Nan
v_bfe_u32 v6, v[vgprValuC+28], 16, 1               // Non-Nan case: store lsb of bf16
v_add3_u32 v6, v[vgprValuC+28], v6, v9             // Non-Nan case: add lsb and the increment for rounding
v_cndmask_b32 v[vgprValuC+28], v6, v8, s[54:55]    // 
v_lshrrev_b32 v[vgprValuC+28], 16, v[vgprValuC+28] // convert C to bf16
v_cmp_u_f32 s[54:55], v[vgprValuC+29], v[vgprValuC+29] // check Nan
v_bfe_u32 v6, v[vgprValuC+29], 16, 1               // Non-Nan case: store lsb of bf16
v_add3_u32 v6, v[vgprValuC+29], v6, v9             // Non-Nan case: add lsb and the increment for rounding
v_cndmask_b32 v[vgprValuC+29], v6, v8, s[54:55]    // 
v_and_or_b32 v28, v[vgprValuC+29], v7, v[vgprValuC+28] // pack two bf16 to dword
v_cmp_u_f32 s[54:55], v[vgprValuC+32], v[vgprValuC+32] // check Nan
v_bfe_u32 v6, v[vgprValuC+32], 16, 1               // Non-Nan case: store lsb of bf16
v_add3_u32 v6, v[vgprValuC+32], v6, v9             // Non-Nan case: add lsb and the increment for rounding
v_cndmask_b32 v[vgprValuC+32], v6, v8, s[54:55]    // 
v_lshrrev_b32 v[vgprValuC+32], 16, v[vgprValuC+32] // convert C to bf16
v_cmp_u_f32 s[54:55], v[vgprValuC+33], v[vgprValuC+33] // check Nan
v_bfe_u32 v6, v[vgprValuC+33], 16, 1               // Non-Nan case: store lsb of bf16
v_add3_u32 v6, v[vgprValuC+33], v6, v9             // Non-Nan case: add lsb and the increment for rounding
v_cndmask_b32 v[vgprValuC+33], v6, v8, s[54:55]    // 
v_and_or_b32 v32, v[vgprValuC+33], v7, v[vgprValuC+32] // pack two bf16 to dword
v_cmp_u_f32 s[54:55], v[vgprValuC+36], v[vgprValuC+36] // check Nan
v_bfe_u32 v6, v[vgprValuC+36], 16, 1               // Non-Nan case: store lsb of bf16
v_add3_u32 v6, v[vgprValuC+36], v6, v9             // Non-Nan case: add lsb and the increment for rounding
v_cndmask_b32 v[vgprValuC+36], v6, v8, s[54:55]    // 
v_lshrrev_b32 v[vgprValuC+36], 16, v[vgprValuC+36] // convert C to bf16
v_cmp_u_f32 s[54:55], v[vgprValuC+37], v[vgprValuC+37] // check Nan
v_bfe_u32 v6, v[vgprValuC+37], 16, 1               // Non-Nan case: store lsb of bf16
v_add3_u32 v6, v[vgprValuC+37], v6, v9             // Non-Nan case: add lsb and the increment for rounding
v_cndmask_b32 v[vgprValuC+37], v6, v8, s[54:55]    // 
v_and_or_b32 v36, v[vgprValuC+37], v7, v[vgprValuC+36] // pack two bf16 to dword
v_cmp_u_f32 s[54:55], v[vgprValuC+40], v[vgprValuC+40] // check Nan
v_bfe_u32 v6, v[vgprValuC+40], 16, 1               // Non-Nan case: store lsb of bf16
v_add3_u32 v6, v[vgprValuC+40], v6, v9             // Non-Nan case: add lsb and the increment for rounding
v_cndmask_b32 v[vgprValuC+40], v6, v8, s[54:55]    // 
v_lshrrev_b32 v[vgprValuC+40], 16, v[vgprValuC+40] // convert C to bf16
v_cmp_u_f32 s[54:55], v[vgprValuC+41], v[vgprValuC+41] // check Nan
v_bfe_u32 v6, v[vgprValuC+41], 16, 1               // Non-Nan case: store lsb of bf16
v_add3_u32 v6, v[vgprValuC+41], v6, v9             // Non-Nan case: add lsb and the increment for rounding
v_cndmask_b32 v[vgprValuC+41], v6, v8, s[54:55]    // 
v_and_or_b32 v40, v[vgprValuC+41], v7, v[vgprValuC+40] // pack two bf16 to dword
v_cmp_u_f32 s[54:55], v[vgprValuC+44], v[vgprValuC+44] // check Nan
v_bfe_u32 v6, v[vgprValuC+44], 16, 1               // Non-Nan case: store lsb of bf16
v_add3_u32 v6, v[vgprValuC+44], v6, v9             // Non-Nan case: add lsb and the increment for rounding
v_cndmask_b32 v[vgprValuC+44], v6, v8, s[54:55]    // 
v_lshrrev_b32 v[vgprValuC+44], 16, v[vgprValuC+44] // convert C to bf16
v_cmp_u_f32 s[54:55], v[vgprValuC+45], v[vgprValuC+45] // check Nan
v_bfe_u32 v6, v[vgprValuC+45], 16, 1               // Non-Nan case: store lsb of bf16
v_add3_u32 v6, v[vgprValuC+45], v6, v9             // Non-Nan case: add lsb and the increment for rounding
v_cndmask_b32 v[vgprValuC+45], v6, v8, s[54:55]    // 
v_and_or_b32 v44, v[vgprValuC+45], v7, v[vgprValuC+44] // pack two bf16 to dword
v_cmp_u_f32 s[54:55], v[vgprValuC+48], v[vgprValuC+48] // check Nan
v_bfe_u32 v6, v[vgprValuC+48], 16, 1               // Non-Nan case: store lsb of bf16
v_add3_u32 v6, v[vgprValuC+48], v6, v9             // Non-Nan case: add lsb and the increment for rounding
v_cndmask_b32 v[vgprValuC+48], v6, v8, s[54:55]    // 
v_lshrrev_b32 v[vgprValuC+48], 16, v[vgprValuC+48] // convert C to bf16
v_cmp_u_f32 s[54:55], v[vgprValuC+49], v[vgprValuC+49] // check Nan
v_bfe_u32 v6, v[vgprValuC+49], 16, 1               // Non-Nan case: store lsb of bf16
v_add3_u32 v6, v[vgprValuC+49], v6, v9             // Non-Nan case: add lsb and the increment for rounding
v_cndmask_b32 v[vgprValuC+49], v6, v8, s[54:55]    // 
v_and_or_b32 v48, v[vgprValuC+49], v7, v[vgprValuC+48] // pack two bf16 to dword
v_cmp_u_f32 s[54:55], v[vgprValuC+52], v[vgprValuC+52] // check Nan
v_bfe_u32 v6, v[vgprValuC+52], 16, 1               // Non-Nan case: store lsb of bf16
v_add3_u32 v6, v[vgprValuC+52], v6, v9             // Non-Nan case: add lsb and the increment for rounding
v_cndmask_b32 v[vgprValuC+52], v6, v8, s[54:55]    // 
v_lshrrev_b32 v[vgprValuC+52], 16, v[vgprValuC+52] // convert C to bf16
v_cmp_u_f32 s[54:55], v[vgprValuC+53], v[vgprValuC+53] // check Nan
v_bfe_u32 v6, v[vgprValuC+53], 16, 1               // Non-Nan case: store lsb of bf16
v_add3_u32 v6, v[vgprValuC+53], v6, v9             // Non-Nan case: add lsb and the increment for rounding
v_cndmask_b32 v[vgprValuC+53], v6, v8, s[54:55]    // 
v_and_or_b32 v52, v[vgprValuC+53], v7, v[vgprValuC+52] // pack two bf16 to dword
v_cmp_u_f32 s[54:55], v[vgprValuC+56], v[vgprValuC+56] // check Nan
v_bfe_u32 v6, v[vgprValuC+56], 16, 1               // Non-Nan case: store lsb of bf16
v_add3_u32 v6, v[vgprValuC+56], v6, v9             // Non-Nan case: add lsb and the increment for rounding
v_cndmask_b32 v[vgprValuC+56], v6, v8, s[54:55]    // 
v_lshrrev_b32 v[vgprValuC+56], 16, v[vgprValuC+56] // convert C to bf16
v_cmp_u_f32 s[54:55], v[vgprValuC+57], v[vgprValuC+57] // check Nan
v_bfe_u32 v6, v[vgprValuC+57], 16, 1               // Non-Nan case: store lsb of bf16
v_add3_u32 v6, v[vgprValuC+57], v6, v9             // Non-Nan case: add lsb and the increment for rounding
v_cndmask_b32 v[vgprValuC+57], v6, v8, s[54:55]    // 
v_and_or_b32 v56, v[vgprValuC+57], v7, v[vgprValuC+56] // pack two bf16 to dword
v_cmp_u_f32 s[54:55], v[vgprValuC+60], v[vgprValuC+60] // check Nan
v_bfe_u32 v6, v[vgprValuC+60], 16, 1               // Non-Nan case: store lsb of bf16
v_add3_u32 v6, v[vgprValuC+60], v6, v9             // Non-Nan case: add lsb and the increment for rounding
v_cndmask_b32 v[vgprValuC+60], v6, v8, s[54:55]    // 
v_lshrrev_b32 v[vgprValuC+60], 16, v[vgprValuC+60] // convert C to bf16
v_cmp_u_f32 s[54:55], v[vgprValuC+61], v[vgprValuC+61] // check Nan
v_bfe_u32 v6, v[vgprValuC+61], 16, 1               // Non-Nan case: store lsb of bf16
v_add3_u32 v6, v[vgprValuC+61], v6, v9             // Non-Nan case: add lsb and the increment for rounding
v_cndmask_b32 v[vgprValuC+61], v6, v8, s[54:55]    // 
v_and_or_b32 v60, v[vgprValuC+61], v7, v[vgprValuC+60] // pack two bf16 to dword
v_cmp_u_f32 s[54:55], v[vgprValuC+64], v[vgprValuC+64] // check Nan
v_bfe_u32 v6, v[vgprValuC+64], 16, 1               // Non-Nan case: store lsb of bf16
v_add3_u32 v6, v[vgprValuC+64], v6, v9             // Non-Nan case: add lsb and the increment for rounding
v_cndmask_b32 v[vgprValuC+64], v6, v8, s[54:55]    // 
v_lshrrev_b32 v[vgprValuC+64], 16, v[vgprValuC+64] // convert C to bf16
v_cmp_u_f32 s[54:55], v[vgprValuC+65], v[vgprValuC+65] // check Nan
v_bfe_u32 v6, v[vgprValuC+65], 16, 1               // Non-Nan case: store lsb of bf16
v_add3_u32 v6, v[vgprValuC+65], v6, v9             // Non-Nan case: add lsb and the increment for rounding
v_cndmask_b32 v[vgprValuC+65], v6, v8, s[54:55]    // 
v_and_or_b32 v64, v[vgprValuC+65], v7, v[vgprValuC+64] // pack two bf16 to dword
v_cmp_u_f32 s[54:55], v[vgprValuC+68], v[vgprValuC+68] // check Nan
v_bfe_u32 v6, v[vgprValuC+68], 16, 1               // Non-Nan case: store lsb of bf16
v_add3_u32 v6, v[vgprValuC+68], v6, v9             // Non-Nan case: add lsb and the increment for rounding
v_cndmask_b32 v[vgprValuC+68], v6, v8, s[54:55]    // 
v_lshrrev_b32 v[vgprValuC+68], 16, v[vgprValuC+68] // convert C to bf16
v_cmp_u_f32 s[54:55], v[vgprValuC+69], v[vgprValuC+69] // check Nan
v_bfe_u32 v6, v[vgprValuC+69], 16, 1               // Non-Nan case: store lsb of bf16
v_add3_u32 v6, v[vgprValuC+69], v6, v9             // Non-Nan case: add lsb and the increment for rounding
v_cndmask_b32 v[vgprValuC+69], v6, v8, s[54:55]    // 
v_and_or_b32 v68, v[vgprValuC+69], v7, v[vgprValuC+68] // pack two bf16 to dword
v_cmp_u_f32 s[54:55], v[vgprValuC+72], v[vgprValuC+72] // check Nan
v_bfe_u32 v6, v[vgprValuC+72], 16, 1               // Non-Nan case: store lsb of bf16
v_add3_u32 v6, v[vgprValuC+72], v6, v9             // Non-Nan case: add lsb and the increment for rounding
v_cndmask_b32 v[vgprValuC+72], v6, v8, s[54:55]    // 
v_lshrrev_b32 v[vgprValuC+72], 16, v[vgprValuC+72] // convert C to bf16
v_cmp_u_f32 s[54:55], v[vgprValuC+73], v[vgprValuC+73] // check Nan
v_bfe_u32 v6, v[vgprValuC+73], 16, 1               // Non-Nan case: store lsb of bf16
v_add3_u32 v6, v[vgprValuC+73], v6, v9             // Non-Nan case: add lsb and the increment for rounding
v_cndmask_b32 v[vgprValuC+73], v6, v8, s[54:55]    // 
v_and_or_b32 v72, v[vgprValuC+73], v7, v[vgprValuC+72] // pack two bf16 to dword
_buffer_store_b32 v12, v10, s[sgprSrdD:sgprSrdD+3], 0, offen, offset:0 // store D
_buffer_store_b32 v16, v14, s[sgprSrdD:sgprSrdD+3], 0, offen, offset:0 // store D
	;; [unrolled: 1-line block ×16, first 2 shown]
s_nop 0                                            // 1 wait state required when next inst writes vgprs held by previous dwordx4 store inst
/* optSingleColVgpr=0 optSharedColVgpr=0 optSGPRUsage=BufferLoad_Edge_Mask optSrdIncForRow=0 */
s_sleep 3 // optimization: sync and wait
s_barrier

/******************************************/
/* Global Write Alpha Edge Batch #2 (d1,d0,vc1,vc0) = */
/*    (4,0,0,0:vw2); (4,1,0,0:vw2); (4,0,1,0:vw2); (4,1,1,0:vw2); (4,0,2,0:vw2); (4,1,2,0:vw2); (4,0,3,0:vw2); (4,1,3,0:vw2); (5,0,0,0:vw2); (5,1,0,0:vw2); (5,0,1,0:vw2); (5,1,1,0:vw2); (5,0,2,0:vw2); (5,1,2,0:vw2); (5,0,3,0:vw2); (5,1,3,0:vw2) */
/******************************************/

/* calc coords, apply mask, and issue loads (if necessary) */
/* (d1,vc1,d0,vc0)=(4,0,0,0) */
_v_add_co_u32 v1, vcc, v1, 37                      // coord1.1: coord1Vgpr += d1*sg1*VW + vc1

/* Fix for UseInitialStridesCD, emitAddressSetupCode */
s_mul_i32 s54, s[sgprStrideC1J], 37                // scale stride
_v_add_u32 v2, v2, s54                             // ROWINC- Move cinRowPtr to next row
s_mul_i32 s54, s[sgprStrideD1J], 37                // scale stride
_v_add_u32 v3, v3, s54                             // Move coutRowPtr to next row
v_cmp_lt_u32 s[54:55], v0, s[sgprSizeI]            // coord0 < size0
v_cmp_lt_u32 s[58:59], v1, s[sgprSizeJ]            // coord1 < size1
s_and_b64 s[58:59], s[54:55], s[58:59]             // in0 && in1
_v_add_lshl_u32 v10, v3, v0, 0x1                   // scaleToBpe: accumulate d0 lower and *= bpe into Cin addr
v_cndmask_b32 v10, -1, v10, s[58:59]               // LDD clip if OOB. offset
/* (d1,vc1,d0,vc0)=(4,0,1,0) */
s_mov_b32 s54, 128                                 // coordOffset0 d0=1 vc0=0
_v_add_co_u32 v4, vcc, v0, s54                     // coord0.2: coord0 += d0*sg0*VW + vc0
v_cmp_lt_u32 s[54:55], v4, s[sgprSizeI]            // coord0 < size0
v_cmp_lt_u32 s[58:59], v1, s[sgprSizeJ]            // coord1 < size1
s_and_b64 s[58:59], s[54:55], s[58:59]             // in0 && in1
_v_add_lshl_u32 v14, v3, v4, 0x1                   // scaleToBpe: accumulate d0 lower and *= bpe into Cin addr
v_cndmask_b32 v14, -1, v14, s[58:59]               // LDD clip if OOB. offset
/* (d1,vc1,d0,vc0)=(4,1,0,0) */
_v_add_co_u32 v1, vcc, v1, 1                       // coord1.1: coord1Vgpr += d1*sg1*VW + vc1

/* Fix for UseInitialStridesCD, emitAddressSetupCode */
_v_add_u32 v2, v2, s[sgprStrideC1J]                // ROWINC- Move cinRowPtr to next row
_v_add_u32 v3, v3, s[sgprStrideD1J]                // Move coutRowPtr to next row
v_cmp_lt_u32 s[54:55], v0, s[sgprSizeI]            // coord0 < size0
v_cmp_lt_u32 s[58:59], v1, s[sgprSizeJ]            // coord1 < size1
s_and_b64 s[58:59], s[54:55], s[58:59]             // in0 && in1
_v_add_lshl_u32 v18, v3, v0, 0x1                   // scaleToBpe: accumulate d0 lower and *= bpe into Cin addr
v_cndmask_b32 v18, -1, v18, s[58:59]               // LDD clip if OOB. offset
/* (d1,vc1,d0,vc0)=(4,1,1,0) */
s_mov_b32 s54, 128                                 // coordOffset0 d0=1 vc0=0
_v_add_co_u32 v4, vcc, v0, s54                     // coord0.2: coord0 += d0*sg0*VW + vc0
v_cmp_lt_u32 s[54:55], v4, s[sgprSizeI]            // coord0 < size0
v_cmp_lt_u32 s[58:59], v1, s[sgprSizeJ]            // coord1 < size1
s_and_b64 s[58:59], s[54:55], s[58:59]             // in0 && in1
_v_add_lshl_u32 v22, v3, v4, 0x1                   // scaleToBpe: accumulate d0 lower and *= bpe into Cin addr
v_cndmask_b32 v22, -1, v22, s[58:59]               // LDD clip if OOB. offset
/* (d1,vc1,d0,vc0)=(4,2,0,0) */
_v_add_co_u32 v1, vcc, v1, 1                       // coord1.1: coord1Vgpr += d1*sg1*VW + vc1

/* Fix for UseInitialStridesCD, emitAddressSetupCode */
_v_add_u32 v2, v2, s[sgprStrideC1J]                // ROWINC- Move cinRowPtr to next row
_v_add_u32 v3, v3, s[sgprStrideD1J]                // Move coutRowPtr to next row
v_cmp_lt_u32 s[54:55], v0, s[sgprSizeI]            // coord0 < size0
v_cmp_lt_u32 s[58:59], v1, s[sgprSizeJ]            // coord1 < size1
s_and_b64 s[58:59], s[54:55], s[58:59]             // in0 && in1
_v_add_lshl_u32 v26, v3, v0, 0x1                   // scaleToBpe: accumulate d0 lower and *= bpe into Cin addr
v_cndmask_b32 v26, -1, v26, s[58:59]               // LDD clip if OOB. offset
/* (d1,vc1,d0,vc0)=(4,2,1,0) */
s_mov_b32 s54, 128                                 // coordOffset0 d0=1 vc0=0
_v_add_co_u32 v4, vcc, v0, s54                     // coord0.2: coord0 += d0*sg0*VW + vc0
v_cmp_lt_u32 s[54:55], v4, s[sgprSizeI]            // coord0 < size0
v_cmp_lt_u32 s[58:59], v1, s[sgprSizeJ]            // coord1 < size1
s_and_b64 s[58:59], s[54:55], s[58:59]             // in0 && in1
_v_add_lshl_u32 v30, v3, v4, 0x1                   // scaleToBpe: accumulate d0 lower and *= bpe into Cin addr
v_cndmask_b32 v30, -1, v30, s[58:59]               // LDD clip if OOB. offset
/* (d1,vc1,d0,vc0)=(4,3,0,0) */
_v_add_co_u32 v1, vcc, v1, 1                       // coord1.1: coord1Vgpr += d1*sg1*VW + vc1

/* Fix for UseInitialStridesCD, emitAddressSetupCode */
_v_add_u32 v2, v2, s[sgprStrideC1J]                // ROWINC- Move cinRowPtr to next row
_v_add_u32 v3, v3, s[sgprStrideD1J]                // Move coutRowPtr to next row
v_cmp_lt_u32 s[54:55], v0, s[sgprSizeI]            // coord0 < size0
v_cmp_lt_u32 s[58:59], v1, s[sgprSizeJ]            // coord1 < size1
s_and_b64 s[58:59], s[54:55], s[58:59]             // in0 && in1
_v_add_lshl_u32 v34, v3, v0, 0x1                   // scaleToBpe: accumulate d0 lower and *= bpe into Cin addr
v_cndmask_b32 v34, -1, v34, s[58:59]               // LDD clip if OOB. offset
/* (d1,vc1,d0,vc0)=(4,3,1,0) */
s_mov_b32 s54, 128                                 // coordOffset0 d0=1 vc0=0
_v_add_co_u32 v4, vcc, v0, s54                     // coord0.2: coord0 += d0*sg0*VW + vc0
v_cmp_lt_u32 s[54:55], v4, s[sgprSizeI]            // coord0 < size0
v_cmp_lt_u32 s[58:59], v1, s[sgprSizeJ]            // coord1 < size1
s_and_b64 s[58:59], s[54:55], s[58:59]             // in0 && in1
_v_add_lshl_u32 v38, v3, v4, 0x1                   // scaleToBpe: accumulate d0 lower and *= bpe into Cin addr
v_cndmask_b32 v38, -1, v38, s[58:59]               // LDD clip if OOB. offset
/* (d1,vc1,d0,vc0)=(5,0,0,0) */
_v_add_co_u32 v1, vcc, v1, 5                       // coord1.1: coord1Vgpr += d1*sg1*VW + vc1

/* Fix for UseInitialStridesCD, emitAddressSetupCode */
s_mul_i32 s54, s[sgprStrideC1J], 5                 // scale stride
_v_add_u32 v2, v2, s54                             // ROWINC- Move cinRowPtr to next row
s_mul_i32 s54, s[sgprStrideD1J], 5                 // scale stride
_v_add_u32 v3, v3, s54                             // Move coutRowPtr to next row
v_cmp_lt_u32 s[54:55], v0, s[sgprSizeI]            // coord0 < size0
v_cmp_lt_u32 s[58:59], v1, s[sgprSizeJ]            // coord1 < size1
s_and_b64 s[58:59], s[54:55], s[58:59]             // in0 && in1
_v_add_lshl_u32 v42, v3, v0, 0x1                   // scaleToBpe: accumulate d0 lower and *= bpe into Cin addr
v_cndmask_b32 v42, -1, v42, s[58:59]               // LDD clip if OOB. offset
/* (d1,vc1,d0,vc0)=(5,0,1,0) */
s_mov_b32 s54, 128                                 // coordOffset0 d0=1 vc0=0
_v_add_co_u32 v4, vcc, v0, s54                     // coord0.2: coord0 += d0*sg0*VW + vc0
v_cmp_lt_u32 s[54:55], v4, s[sgprSizeI]            // coord0 < size0
v_cmp_lt_u32 s[58:59], v1, s[sgprSizeJ]            // coord1 < size1
s_and_b64 s[58:59], s[54:55], s[58:59]             // in0 && in1
_v_add_lshl_u32 v46, v3, v4, 0x1                   // scaleToBpe: accumulate d0 lower and *= bpe into Cin addr
v_cndmask_b32 v46, -1, v46, s[58:59]               // LDD clip if OOB. offset
/* (d1,vc1,d0,vc0)=(5,1,0,0) */
_v_add_co_u32 v1, vcc, v1, 1                       // coord1.1: coord1Vgpr += d1*sg1*VW + vc1

/* Fix for UseInitialStridesCD, emitAddressSetupCode */
_v_add_u32 v2, v2, s[sgprStrideC1J]                // ROWINC- Move cinRowPtr to next row
_v_add_u32 v3, v3, s[sgprStrideD1J]                // Move coutRowPtr to next row
v_cmp_lt_u32 s[54:55], v0, s[sgprSizeI]            // coord0 < size0
v_cmp_lt_u32 s[58:59], v1, s[sgprSizeJ]            // coord1 < size1
s_and_b64 s[58:59], s[54:55], s[58:59]             // in0 && in1
_v_add_lshl_u32 v50, v3, v0, 0x1                   // scaleToBpe: accumulate d0 lower and *= bpe into Cin addr
v_cndmask_b32 v50, -1, v50, s[58:59]               // LDD clip if OOB. offset
/* (d1,vc1,d0,vc0)=(5,1,1,0) */
s_mov_b32 s54, 128                                 // coordOffset0 d0=1 vc0=0
_v_add_co_u32 v4, vcc, v0, s54                     // coord0.2: coord0 += d0*sg0*VW + vc0
v_cmp_lt_u32 s[54:55], v4, s[sgprSizeI]            // coord0 < size0
v_cmp_lt_u32 s[58:59], v1, s[sgprSizeJ]            // coord1 < size1
s_and_b64 s[58:59], s[54:55], s[58:59]             // in0 && in1
_v_add_lshl_u32 v54, v3, v4, 0x1                   // scaleToBpe: accumulate d0 lower and *= bpe into Cin addr
v_cndmask_b32 v54, -1, v54, s[58:59]               // LDD clip if OOB. offset
/* (d1,vc1,d0,vc0)=(5,2,0,0) */
_v_add_co_u32 v1, vcc, v1, 1                       // coord1.1: coord1Vgpr += d1*sg1*VW + vc1

/* Fix for UseInitialStridesCD, emitAddressSetupCode */
_v_add_u32 v2, v2, s[sgprStrideC1J]                // ROWINC- Move cinRowPtr to next row
_v_add_u32 v3, v3, s[sgprStrideD1J]                // Move coutRowPtr to next row
v_cmp_lt_u32 s[54:55], v0, s[sgprSizeI]            // coord0 < size0
v_cmp_lt_u32 s[58:59], v1, s[sgprSizeJ]            // coord1 < size1
s_and_b64 s[58:59], s[54:55], s[58:59]             // in0 && in1
_v_add_lshl_u32 v58, v3, v0, 0x1                   // scaleToBpe: accumulate d0 lower and *= bpe into Cin addr
v_cndmask_b32 v58, -1, v58, s[58:59]               // LDD clip if OOB. offset
/* (d1,vc1,d0,vc0)=(5,2,1,0) */
s_mov_b32 s54, 128                                 // coordOffset0 d0=1 vc0=0
_v_add_co_u32 v4, vcc, v0, s54                     // coord0.2: coord0 += d0*sg0*VW + vc0
v_cmp_lt_u32 s[54:55], v4, s[sgprSizeI]            // coord0 < size0
v_cmp_lt_u32 s[58:59], v1, s[sgprSizeJ]            // coord1 < size1
s_and_b64 s[58:59], s[54:55], s[58:59]             // in0 && in1
_v_add_lshl_u32 v62, v3, v4, 0x1                   // scaleToBpe: accumulate d0 lower and *= bpe into Cin addr
v_cndmask_b32 v62, -1, v62, s[58:59]               // LDD clip if OOB. offset
/* (d1,vc1,d0,vc0)=(5,3,0,0) */
_v_add_co_u32 v1, vcc, v1, 1                       // coord1.1: coord1Vgpr += d1*sg1*VW + vc1

/* Fix for UseInitialStridesCD, emitAddressSetupCode */
_v_add_u32 v2, v2, s[sgprStrideC1J]                // ROWINC- Move cinRowPtr to next row
_v_add_u32 v3, v3, s[sgprStrideD1J]                // Move coutRowPtr to next row
v_cmp_lt_u32 s[54:55], v0, s[sgprSizeI]            // coord0 < size0
v_cmp_lt_u32 s[58:59], v1, s[sgprSizeJ]            // coord1 < size1
s_and_b64 s[58:59], s[54:55], s[58:59]             // in0 && in1
_v_add_lshl_u32 v66, v3, v0, 0x1                   // scaleToBpe: accumulate d0 lower and *= bpe into Cin addr
v_cndmask_b32 v66, -1, v66, s[58:59]               // LDD clip if OOB. offset
/* (d1,vc1,d0,vc0)=(5,3,1,0) */
s_mov_b32 s54, 128                                 // coordOffset0 d0=1 vc0=0
_v_add_co_u32 v4, vcc, v0, s54                     // coord0.2: coord0 += d0*sg0*VW + vc0
v_cmp_lt_u32 s[54:55], v4, s[sgprSizeI]            // coord0 < size0
v_cmp_lt_u32 s[58:59], v1, s[sgprSizeJ]            // coord1 < size1
s_and_b64 s[58:59], s[54:55], s[58:59]             // in0 && in1
_v_add_lshl_u32 v70, v3, v4, 0x1                   // scaleToBpe: accumulate d0 lower and *= bpe into Cin addr
v_cndmask_b32 v70, -1, v70, s[58:59]               // LDD clip if OOB. offset
v_accvgpr_read_b32 v[vgprValuC+12], acc64 // copy acc to vreg[64]
v_accvgpr_read_b32 v[vgprValuC+13], acc80 // copy acc to vreg[65]
v_accvgpr_read_b32 v[vgprValuC+16], acc96 // copy acc to vreg[66]
v_accvgpr_read_b32 v[vgprValuC+17], acc112 // copy acc to vreg[67]
v_accvgpr_read_b32 v[vgprValuC+20], acc65 // copy acc to vreg[68]
v_accvgpr_read_b32 v[vgprValuC+21], acc81 // copy acc to vreg[69]
v_accvgpr_read_b32 v[vgprValuC+24], acc97 // copy acc to vreg[70]
v_accvgpr_read_b32 v[vgprValuC+25], acc113 // copy acc to vreg[71]
v_accvgpr_read_b32 v[vgprValuC+28], acc66 // copy acc to vreg[72]
v_accvgpr_read_b32 v[vgprValuC+29], acc82 // copy acc to vreg[73]
v_accvgpr_read_b32 v[vgprValuC+32], acc98 // copy acc to vreg[74]
v_accvgpr_read_b32 v[vgprValuC+33], acc114 // copy acc to vreg[75]
v_accvgpr_read_b32 v[vgprValuC+36], acc67 // copy acc to vreg[76]
v_accvgpr_read_b32 v[vgprValuC+37], acc83 // copy acc to vreg[77]
v_accvgpr_read_b32 v[vgprValuC+40], acc99 // copy acc to vreg[78]
v_accvgpr_read_b32 v[vgprValuC+41], acc115 // copy acc to vreg[79]
v_accvgpr_read_b32 v[vgprValuC+44], acc68 // copy acc to vreg[80]
v_accvgpr_read_b32 v[vgprValuC+45], acc84 // copy acc to vreg[81]
v_accvgpr_read_b32 v[vgprValuC+48], acc100 // copy acc to vreg[82]
v_accvgpr_read_b32 v[vgprValuC+49], acc116 // copy acc to vreg[83]
v_accvgpr_read_b32 v[vgprValuC+52], acc69 // copy acc to vreg[84]
v_accvgpr_read_b32 v[vgprValuC+53], acc85 // copy acc to vreg[85]
v_accvgpr_read_b32 v[vgprValuC+56], acc101 // copy acc to vreg[86]
v_accvgpr_read_b32 v[vgprValuC+57], acc117 // copy acc to vreg[87]
v_accvgpr_read_b32 v[vgprValuC+60], acc70 // copy acc to vreg[88]
v_accvgpr_read_b32 v[vgprValuC+61], acc86 // copy acc to vreg[89]
v_accvgpr_read_b32 v[vgprValuC+64], acc102 // copy acc to vreg[90]
v_accvgpr_read_b32 v[vgprValuC+65], acc118 // copy acc to vreg[91]
v_accvgpr_read_b32 v[vgprValuC+68], acc71 // copy acc to vreg[92]
v_accvgpr_read_b32 v[vgprValuC+69], acc87 // copy acc to vreg[93]
v_accvgpr_read_b32 v[vgprValuC+72], acc103 // copy acc to vreg[94]
v_accvgpr_read_b32 v[vgprValuC+73], acc119 // copy acc to vreg[95]
s_nop 1                                            // 2 wait states required before reading vgpr

/* rC *= alpha batchElements=[(4, 0, 0, 0), (4, 1, 0, 0), (4, 0, 1, 0), (4, 1, 1, 0), (4, 0, 2, 0), (4, 1, 2, 0), (4, 0, 3, 0), (4, 1, 3, 0), (5, 0, 0, 0), (5, 1, 0, 0), (5, 0, 1, 0), (5, 1, 1, 0), (5, 0, 2, 0), (5, 1, 2, 0), (5, 0, 3, 0), (5, 1, 3, 0)] */
v_mul_f32 v[vgprValuC+12], s[sgprAlpha], v[vgprValuC+12] // *= alpha
v_mul_f32 v[vgprValuC+13], s[sgprAlpha], v[vgprValuC+13] // *= alpha
	;; [unrolled: 1-line block ×32, first 2 shown]

/* apply mask, calc new C and issue writes */
v_mov_b32 v7, 0xffff0000                           // mask for pack two bfloat16 element to 32bit
v_mov_b32 v8, 0x7fff0000                           // fp32 Nan
v_mov_b32 v9, 0x7fff                               // rounding bias for bfloat16
v_cmp_u_f32 s[54:55], v[vgprValuC+12], v[vgprValuC+12] // check Nan
v_bfe_u32 v6, v[vgprValuC+12], 16, 1               // Non-Nan case: store lsb of bf16
v_add3_u32 v6, v[vgprValuC+12], v6, v9             // Non-Nan case: add lsb and the increment for rounding
v_cndmask_b32 v[vgprValuC+12], v6, v8, s[54:55]    // 
v_lshrrev_b32 v[vgprValuC+12], 16, v[vgprValuC+12] // convert C to bf16
v_cmp_u_f32 s[54:55], v[vgprValuC+13], v[vgprValuC+13] // check Nan
v_bfe_u32 v6, v[vgprValuC+13], 16, 1               // Non-Nan case: store lsb of bf16
v_add3_u32 v6, v[vgprValuC+13], v6, v9             // Non-Nan case: add lsb and the increment for rounding
v_cndmask_b32 v[vgprValuC+13], v6, v8, s[54:55]    // 
v_and_or_b32 v12, v[vgprValuC+13], v7, v[vgprValuC+12] // pack two bf16 to dword
v_cmp_u_f32 s[54:55], v[vgprValuC+16], v[vgprValuC+16] // check Nan
v_bfe_u32 v6, v[vgprValuC+16], 16, 1               // Non-Nan case: store lsb of bf16
v_add3_u32 v6, v[vgprValuC+16], v6, v9             // Non-Nan case: add lsb and the increment for rounding
v_cndmask_b32 v[vgprValuC+16], v6, v8, s[54:55]    // 
v_lshrrev_b32 v[vgprValuC+16], 16, v[vgprValuC+16] // convert C to bf16
v_cmp_u_f32 s[54:55], v[vgprValuC+17], v[vgprValuC+17] // check Nan
v_bfe_u32 v6, v[vgprValuC+17], 16, 1               // Non-Nan case: store lsb of bf16
v_add3_u32 v6, v[vgprValuC+17], v6, v9             // Non-Nan case: add lsb and the increment for rounding
v_cndmask_b32 v[vgprValuC+17], v6, v8, s[54:55]    // 
v_and_or_b32 v16, v[vgprValuC+17], v7, v[vgprValuC+16] // pack two bf16 to dword
v_cmp_u_f32 s[54:55], v[vgprValuC+20], v[vgprValuC+20] // check Nan
v_bfe_u32 v6, v[vgprValuC+20], 16, 1               // Non-Nan case: store lsb of bf16
v_add3_u32 v6, v[vgprValuC+20], v6, v9             // Non-Nan case: add lsb and the increment for rounding
v_cndmask_b32 v[vgprValuC+20], v6, v8, s[54:55]    // 
v_lshrrev_b32 v[vgprValuC+20], 16, v[vgprValuC+20] // convert C to bf16
v_cmp_u_f32 s[54:55], v[vgprValuC+21], v[vgprValuC+21] // check Nan
v_bfe_u32 v6, v[vgprValuC+21], 16, 1               // Non-Nan case: store lsb of bf16
v_add3_u32 v6, v[vgprValuC+21], v6, v9             // Non-Nan case: add lsb and the increment for rounding
v_cndmask_b32 v[vgprValuC+21], v6, v8, s[54:55]    // 
v_and_or_b32 v20, v[vgprValuC+21], v7, v[vgprValuC+20] // pack two bf16 to dword
v_cmp_u_f32 s[54:55], v[vgprValuC+24], v[vgprValuC+24] // check Nan
v_bfe_u32 v6, v[vgprValuC+24], 16, 1               // Non-Nan case: store lsb of bf16
v_add3_u32 v6, v[vgprValuC+24], v6, v9             // Non-Nan case: add lsb and the increment for rounding
v_cndmask_b32 v[vgprValuC+24], v6, v8, s[54:55]    // 
v_lshrrev_b32 v[vgprValuC+24], 16, v[vgprValuC+24] // convert C to bf16
v_cmp_u_f32 s[54:55], v[vgprValuC+25], v[vgprValuC+25] // check Nan
v_bfe_u32 v6, v[vgprValuC+25], 16, 1               // Non-Nan case: store lsb of bf16
v_add3_u32 v6, v[vgprValuC+25], v6, v9             // Non-Nan case: add lsb and the increment for rounding
v_cndmask_b32 v[vgprValuC+25], v6, v8, s[54:55]    // 
v_and_or_b32 v24, v[vgprValuC+25], v7, v[vgprValuC+24] // pack two bf16 to dword
v_cmp_u_f32 s[54:55], v[vgprValuC+28], v[vgprValuC+28] // check Nan
v_bfe_u32 v6, v[vgprValuC+28], 16, 1               // Non-Nan case: store lsb of bf16
v_add3_u32 v6, v[vgprValuC+28], v6, v9             // Non-Nan case: add lsb and the increment for rounding
v_cndmask_b32 v[vgprValuC+28], v6, v8, s[54:55]    // 
v_lshrrev_b32 v[vgprValuC+28], 16, v[vgprValuC+28] // convert C to bf16
v_cmp_u_f32 s[54:55], v[vgprValuC+29], v[vgprValuC+29] // check Nan
v_bfe_u32 v6, v[vgprValuC+29], 16, 1               // Non-Nan case: store lsb of bf16
v_add3_u32 v6, v[vgprValuC+29], v6, v9             // Non-Nan case: add lsb and the increment for rounding
v_cndmask_b32 v[vgprValuC+29], v6, v8, s[54:55]    // 
v_and_or_b32 v28, v[vgprValuC+29], v7, v[vgprValuC+28] // pack two bf16 to dword
v_cmp_u_f32 s[54:55], v[vgprValuC+32], v[vgprValuC+32] // check Nan
v_bfe_u32 v6, v[vgprValuC+32], 16, 1               // Non-Nan case: store lsb of bf16
v_add3_u32 v6, v[vgprValuC+32], v6, v9             // Non-Nan case: add lsb and the increment for rounding
v_cndmask_b32 v[vgprValuC+32], v6, v8, s[54:55]    // 
v_lshrrev_b32 v[vgprValuC+32], 16, v[vgprValuC+32] // convert C to bf16
v_cmp_u_f32 s[54:55], v[vgprValuC+33], v[vgprValuC+33] // check Nan
v_bfe_u32 v6, v[vgprValuC+33], 16, 1               // Non-Nan case: store lsb of bf16
v_add3_u32 v6, v[vgprValuC+33], v6, v9             // Non-Nan case: add lsb and the increment for rounding
v_cndmask_b32 v[vgprValuC+33], v6, v8, s[54:55]    // 
v_and_or_b32 v32, v[vgprValuC+33], v7, v[vgprValuC+32] // pack two bf16 to dword
v_cmp_u_f32 s[54:55], v[vgprValuC+36], v[vgprValuC+36] // check Nan
v_bfe_u32 v6, v[vgprValuC+36], 16, 1               // Non-Nan case: store lsb of bf16
v_add3_u32 v6, v[vgprValuC+36], v6, v9             // Non-Nan case: add lsb and the increment for rounding
v_cndmask_b32 v[vgprValuC+36], v6, v8, s[54:55]    // 
v_lshrrev_b32 v[vgprValuC+36], 16, v[vgprValuC+36] // convert C to bf16
v_cmp_u_f32 s[54:55], v[vgprValuC+37], v[vgprValuC+37] // check Nan
v_bfe_u32 v6, v[vgprValuC+37], 16, 1               // Non-Nan case: store lsb of bf16
v_add3_u32 v6, v[vgprValuC+37], v6, v9             // Non-Nan case: add lsb and the increment for rounding
v_cndmask_b32 v[vgprValuC+37], v6, v8, s[54:55]    // 
v_and_or_b32 v36, v[vgprValuC+37], v7, v[vgprValuC+36] // pack two bf16 to dword
v_cmp_u_f32 s[54:55], v[vgprValuC+40], v[vgprValuC+40] // check Nan
v_bfe_u32 v6, v[vgprValuC+40], 16, 1               // Non-Nan case: store lsb of bf16
v_add3_u32 v6, v[vgprValuC+40], v6, v9             // Non-Nan case: add lsb and the increment for rounding
v_cndmask_b32 v[vgprValuC+40], v6, v8, s[54:55]    // 
v_lshrrev_b32 v[vgprValuC+40], 16, v[vgprValuC+40] // convert C to bf16
v_cmp_u_f32 s[54:55], v[vgprValuC+41], v[vgprValuC+41] // check Nan
v_bfe_u32 v6, v[vgprValuC+41], 16, 1               // Non-Nan case: store lsb of bf16
v_add3_u32 v6, v[vgprValuC+41], v6, v9             // Non-Nan case: add lsb and the increment for rounding
v_cndmask_b32 v[vgprValuC+41], v6, v8, s[54:55]    // 
v_and_or_b32 v40, v[vgprValuC+41], v7, v[vgprValuC+40] // pack two bf16 to dword
v_cmp_u_f32 s[54:55], v[vgprValuC+44], v[vgprValuC+44] // check Nan
v_bfe_u32 v6, v[vgprValuC+44], 16, 1               // Non-Nan case: store lsb of bf16
v_add3_u32 v6, v[vgprValuC+44], v6, v9             // Non-Nan case: add lsb and the increment for rounding
v_cndmask_b32 v[vgprValuC+44], v6, v8, s[54:55]    // 
v_lshrrev_b32 v[vgprValuC+44], 16, v[vgprValuC+44] // convert C to bf16
v_cmp_u_f32 s[54:55], v[vgprValuC+45], v[vgprValuC+45] // check Nan
v_bfe_u32 v6, v[vgprValuC+45], 16, 1               // Non-Nan case: store lsb of bf16
v_add3_u32 v6, v[vgprValuC+45], v6, v9             // Non-Nan case: add lsb and the increment for rounding
v_cndmask_b32 v[vgprValuC+45], v6, v8, s[54:55]    // 
v_and_or_b32 v44, v[vgprValuC+45], v7, v[vgprValuC+44] // pack two bf16 to dword
v_cmp_u_f32 s[54:55], v[vgprValuC+48], v[vgprValuC+48] // check Nan
v_bfe_u32 v6, v[vgprValuC+48], 16, 1               // Non-Nan case: store lsb of bf16
v_add3_u32 v6, v[vgprValuC+48], v6, v9             // Non-Nan case: add lsb and the increment for rounding
v_cndmask_b32 v[vgprValuC+48], v6, v8, s[54:55]    // 
v_lshrrev_b32 v[vgprValuC+48], 16, v[vgprValuC+48] // convert C to bf16
v_cmp_u_f32 s[54:55], v[vgprValuC+49], v[vgprValuC+49] // check Nan
v_bfe_u32 v6, v[vgprValuC+49], 16, 1               // Non-Nan case: store lsb of bf16
v_add3_u32 v6, v[vgprValuC+49], v6, v9             // Non-Nan case: add lsb and the increment for rounding
v_cndmask_b32 v[vgprValuC+49], v6, v8, s[54:55]    // 
v_and_or_b32 v48, v[vgprValuC+49], v7, v[vgprValuC+48] // pack two bf16 to dword
v_cmp_u_f32 s[54:55], v[vgprValuC+52], v[vgprValuC+52] // check Nan
v_bfe_u32 v6, v[vgprValuC+52], 16, 1               // Non-Nan case: store lsb of bf16
v_add3_u32 v6, v[vgprValuC+52], v6, v9             // Non-Nan case: add lsb and the increment for rounding
v_cndmask_b32 v[vgprValuC+52], v6, v8, s[54:55]    // 
v_lshrrev_b32 v[vgprValuC+52], 16, v[vgprValuC+52] // convert C to bf16
v_cmp_u_f32 s[54:55], v[vgprValuC+53], v[vgprValuC+53] // check Nan
v_bfe_u32 v6, v[vgprValuC+53], 16, 1               // Non-Nan case: store lsb of bf16
v_add3_u32 v6, v[vgprValuC+53], v6, v9             // Non-Nan case: add lsb and the increment for rounding
v_cndmask_b32 v[vgprValuC+53], v6, v8, s[54:55]    // 
v_and_or_b32 v52, v[vgprValuC+53], v7, v[vgprValuC+52] // pack two bf16 to dword
v_cmp_u_f32 s[54:55], v[vgprValuC+56], v[vgprValuC+56] // check Nan
v_bfe_u32 v6, v[vgprValuC+56], 16, 1               // Non-Nan case: store lsb of bf16
v_add3_u32 v6, v[vgprValuC+56], v6, v9             // Non-Nan case: add lsb and the increment for rounding
v_cndmask_b32 v[vgprValuC+56], v6, v8, s[54:55]    // 
v_lshrrev_b32 v[vgprValuC+56], 16, v[vgprValuC+56] // convert C to bf16
v_cmp_u_f32 s[54:55], v[vgprValuC+57], v[vgprValuC+57] // check Nan
v_bfe_u32 v6, v[vgprValuC+57], 16, 1               // Non-Nan case: store lsb of bf16
v_add3_u32 v6, v[vgprValuC+57], v6, v9             // Non-Nan case: add lsb and the increment for rounding
v_cndmask_b32 v[vgprValuC+57], v6, v8, s[54:55]    // 
v_and_or_b32 v56, v[vgprValuC+57], v7, v[vgprValuC+56] // pack two bf16 to dword
v_cmp_u_f32 s[54:55], v[vgprValuC+60], v[vgprValuC+60] // check Nan
v_bfe_u32 v6, v[vgprValuC+60], 16, 1               // Non-Nan case: store lsb of bf16
v_add3_u32 v6, v[vgprValuC+60], v6, v9             // Non-Nan case: add lsb and the increment for rounding
v_cndmask_b32 v[vgprValuC+60], v6, v8, s[54:55]    // 
v_lshrrev_b32 v[vgprValuC+60], 16, v[vgprValuC+60] // convert C to bf16
v_cmp_u_f32 s[54:55], v[vgprValuC+61], v[vgprValuC+61] // check Nan
v_bfe_u32 v6, v[vgprValuC+61], 16, 1               // Non-Nan case: store lsb of bf16
v_add3_u32 v6, v[vgprValuC+61], v6, v9             // Non-Nan case: add lsb and the increment for rounding
v_cndmask_b32 v[vgprValuC+61], v6, v8, s[54:55]    // 
v_and_or_b32 v60, v[vgprValuC+61], v7, v[vgprValuC+60] // pack two bf16 to dword
v_cmp_u_f32 s[54:55], v[vgprValuC+64], v[vgprValuC+64] // check Nan
v_bfe_u32 v6, v[vgprValuC+64], 16, 1               // Non-Nan case: store lsb of bf16
v_add3_u32 v6, v[vgprValuC+64], v6, v9             // Non-Nan case: add lsb and the increment for rounding
v_cndmask_b32 v[vgprValuC+64], v6, v8, s[54:55]    // 
v_lshrrev_b32 v[vgprValuC+64], 16, v[vgprValuC+64] // convert C to bf16
v_cmp_u_f32 s[54:55], v[vgprValuC+65], v[vgprValuC+65] // check Nan
v_bfe_u32 v6, v[vgprValuC+65], 16, 1               // Non-Nan case: store lsb of bf16
v_add3_u32 v6, v[vgprValuC+65], v6, v9             // Non-Nan case: add lsb and the increment for rounding
v_cndmask_b32 v[vgprValuC+65], v6, v8, s[54:55]    // 
v_and_or_b32 v64, v[vgprValuC+65], v7, v[vgprValuC+64] // pack two bf16 to dword
v_cmp_u_f32 s[54:55], v[vgprValuC+68], v[vgprValuC+68] // check Nan
v_bfe_u32 v6, v[vgprValuC+68], 16, 1               // Non-Nan case: store lsb of bf16
v_add3_u32 v6, v[vgprValuC+68], v6, v9             // Non-Nan case: add lsb and the increment for rounding
v_cndmask_b32 v[vgprValuC+68], v6, v8, s[54:55]    // 
v_lshrrev_b32 v[vgprValuC+68], 16, v[vgprValuC+68] // convert C to bf16
v_cmp_u_f32 s[54:55], v[vgprValuC+69], v[vgprValuC+69] // check Nan
v_bfe_u32 v6, v[vgprValuC+69], 16, 1               // Non-Nan case: store lsb of bf16
v_add3_u32 v6, v[vgprValuC+69], v6, v9             // Non-Nan case: add lsb and the increment for rounding
v_cndmask_b32 v[vgprValuC+69], v6, v8, s[54:55]    // 
v_and_or_b32 v68, v[vgprValuC+69], v7, v[vgprValuC+68] // pack two bf16 to dword
v_cmp_u_f32 s[54:55], v[vgprValuC+72], v[vgprValuC+72] // check Nan
v_bfe_u32 v6, v[vgprValuC+72], 16, 1               // Non-Nan case: store lsb of bf16
v_add3_u32 v6, v[vgprValuC+72], v6, v9             // Non-Nan case: add lsb and the increment for rounding
v_cndmask_b32 v[vgprValuC+72], v6, v8, s[54:55]    // 
v_lshrrev_b32 v[vgprValuC+72], 16, v[vgprValuC+72] // convert C to bf16
v_cmp_u_f32 s[54:55], v[vgprValuC+73], v[vgprValuC+73] // check Nan
v_bfe_u32 v6, v[vgprValuC+73], 16, 1               // Non-Nan case: store lsb of bf16
v_add3_u32 v6, v[vgprValuC+73], v6, v9             // Non-Nan case: add lsb and the increment for rounding
v_cndmask_b32 v[vgprValuC+73], v6, v8, s[54:55]    // 
v_and_or_b32 v72, v[vgprValuC+73], v7, v[vgprValuC+72] // pack two bf16 to dword
_buffer_store_b32 v12, v10, s[sgprSrdD:sgprSrdD+3], 0, offen, offset:0 // store D
_buffer_store_b32 v16, v14, s[sgprSrdD:sgprSrdD+3], 0, offen, offset:0 // store D
	;; [unrolled: 1-line block ×16, first 2 shown]
s_nop 0                                            // 1 wait state required when next inst writes vgprs held by previous dwordx4 store inst
/* optSingleColVgpr=0 optSharedColVgpr=0 optSGPRUsage=BufferLoad_Edge_Mask optSrdIncForRow=0 */
s_sleep 3 // optimization: sync and wait
s_barrier

/******************************************/
/* Global Write Alpha Edge Batch #3 (d1,d0,vc1,vc0) = */
/*    (6,0,0,0:vw2); (6,1,0,0:vw2); (6,0,1,0:vw2); (6,1,1,0:vw2); (6,0,2,0:vw2); (6,1,2,0:vw2); (6,0,3,0:vw2); (6,1,3,0:vw2); (7,0,0,0:vw2); (7,1,0,0:vw2); (7,0,1,0:vw2); (7,1,1,0:vw2); (7,0,2,0:vw2); (7,1,2,0:vw2); (7,0,3,0:vw2); (7,1,3,0:vw2) */
/******************************************/

/* calc coords, apply mask, and issue loads (if necessary) */
/* (d1,vc1,d0,vc0)=(6,0,0,0) */
_v_add_co_u32 v1, vcc, v1, 5                       // coord1.1: coord1Vgpr += d1*sg1*VW + vc1

/* Fix for UseInitialStridesCD, emitAddressSetupCode */
s_mul_i32 s54, s[sgprStrideC1J], 5                 // scale stride
_v_add_u32 v2, v2, s54                             // ROWINC- Move cinRowPtr to next row
s_mul_i32 s54, s[sgprStrideD1J], 5                 // scale stride
_v_add_u32 v3, v3, s54                             // Move coutRowPtr to next row
v_cmp_lt_u32 s[54:55], v0, s[sgprSizeI]            // coord0 < size0
v_cmp_lt_u32 s[58:59], v1, s[sgprSizeJ]            // coord1 < size1
s_and_b64 s[58:59], s[54:55], s[58:59]             // in0 && in1
_v_add_lshl_u32 v10, v3, v0, 0x1                   // scaleToBpe: accumulate d0 lower and *= bpe into Cin addr
v_cndmask_b32 v10, -1, v10, s[58:59]               // LDD clip if OOB. offset
/* (d1,vc1,d0,vc0)=(6,0,1,0) */
s_mov_b32 s54, 128                                 // coordOffset0 d0=1 vc0=0
_v_add_co_u32 v4, vcc, v0, s54                     // coord0.2: coord0 += d0*sg0*VW + vc0
v_cmp_lt_u32 s[54:55], v4, s[sgprSizeI]            // coord0 < size0
v_cmp_lt_u32 s[58:59], v1, s[sgprSizeJ]            // coord1 < size1
s_and_b64 s[58:59], s[54:55], s[58:59]             // in0 && in1
_v_add_lshl_u32 v14, v3, v4, 0x1                   // scaleToBpe: accumulate d0 lower and *= bpe into Cin addr
v_cndmask_b32 v14, -1, v14, s[58:59]               // LDD clip if OOB. offset
/* (d1,vc1,d0,vc0)=(6,1,0,0) */
_v_add_co_u32 v1, vcc, v1, 1                       // coord1.1: coord1Vgpr += d1*sg1*VW + vc1

/* Fix for UseInitialStridesCD, emitAddressSetupCode */
_v_add_u32 v2, v2, s[sgprStrideC1J]                // ROWINC- Move cinRowPtr to next row
_v_add_u32 v3, v3, s[sgprStrideD1J]                // Move coutRowPtr to next row
v_cmp_lt_u32 s[54:55], v0, s[sgprSizeI]            // coord0 < size0
v_cmp_lt_u32 s[58:59], v1, s[sgprSizeJ]            // coord1 < size1
s_and_b64 s[58:59], s[54:55], s[58:59]             // in0 && in1
_v_add_lshl_u32 v18, v3, v0, 0x1                   // scaleToBpe: accumulate d0 lower and *= bpe into Cin addr
v_cndmask_b32 v18, -1, v18, s[58:59]               // LDD clip if OOB. offset
/* (d1,vc1,d0,vc0)=(6,1,1,0) */
s_mov_b32 s54, 128                                 // coordOffset0 d0=1 vc0=0
_v_add_co_u32 v4, vcc, v0, s54                     // coord0.2: coord0 += d0*sg0*VW + vc0
v_cmp_lt_u32 s[54:55], v4, s[sgprSizeI]            // coord0 < size0
v_cmp_lt_u32 s[58:59], v1, s[sgprSizeJ]            // coord1 < size1
s_and_b64 s[58:59], s[54:55], s[58:59]             // in0 && in1
_v_add_lshl_u32 v22, v3, v4, 0x1                   // scaleToBpe: accumulate d0 lower and *= bpe into Cin addr
v_cndmask_b32 v22, -1, v22, s[58:59]               // LDD clip if OOB. offset
/* (d1,vc1,d0,vc0)=(6,2,0,0) */
_v_add_co_u32 v1, vcc, v1, 1                       // coord1.1: coord1Vgpr += d1*sg1*VW + vc1

/* Fix for UseInitialStridesCD, emitAddressSetupCode */
_v_add_u32 v2, v2, s[sgprStrideC1J]                // ROWINC- Move cinRowPtr to next row
_v_add_u32 v3, v3, s[sgprStrideD1J]                // Move coutRowPtr to next row
	;; [unrolled: 19-line block ×3, first 2 shown]
v_cmp_lt_u32 s[54:55], v0, s[sgprSizeI]            // coord0 < size0
v_cmp_lt_u32 s[58:59], v1, s[sgprSizeJ]            // coord1 < size1
s_and_b64 s[58:59], s[54:55], s[58:59]             // in0 && in1
_v_add_lshl_u32 v34, v3, v0, 0x1                   // scaleToBpe: accumulate d0 lower and *= bpe into Cin addr
v_cndmask_b32 v34, -1, v34, s[58:59]               // LDD clip if OOB. offset
/* (d1,vc1,d0,vc0)=(6,3,1,0) */
s_mov_b32 s54, 128                                 // coordOffset0 d0=1 vc0=0
_v_add_co_u32 v4, vcc, v0, s54                     // coord0.2: coord0 += d0*sg0*VW + vc0
v_cmp_lt_u32 s[54:55], v4, s[sgprSizeI]            // coord0 < size0
v_cmp_lt_u32 s[58:59], v1, s[sgprSizeJ]            // coord1 < size1
s_and_b64 s[58:59], s[54:55], s[58:59]             // in0 && in1
_v_add_lshl_u32 v38, v3, v4, 0x1                   // scaleToBpe: accumulate d0 lower and *= bpe into Cin addr
v_cndmask_b32 v38, -1, v38, s[58:59]               // LDD clip if OOB. offset
/* (d1,vc1,d0,vc0)=(7,0,0,0) */
_v_add_co_u32 v1, vcc, v1, 5                       // coord1.1: coord1Vgpr += d1*sg1*VW + vc1

/* Fix for UseInitialStridesCD, emitAddressSetupCode */
s_mul_i32 s54, s[sgprStrideC1J], 5                 // scale stride
_v_add_u32 v2, v2, s54                             // ROWINC- Move cinRowPtr to next row
s_mul_i32 s54, s[sgprStrideD1J], 5                 // scale stride
_v_add_u32 v3, v3, s54                             // Move coutRowPtr to next row
v_cmp_lt_u32 s[54:55], v0, s[sgprSizeI]            // coord0 < size0
v_cmp_lt_u32 s[58:59], v1, s[sgprSizeJ]            // coord1 < size1
s_and_b64 s[58:59], s[54:55], s[58:59]             // in0 && in1
_v_add_lshl_u32 v42, v3, v0, 0x1                   // scaleToBpe: accumulate d0 lower and *= bpe into Cin addr
v_cndmask_b32 v42, -1, v42, s[58:59]               // LDD clip if OOB. offset
/* (d1,vc1,d0,vc0)=(7,0,1,0) */
s_mov_b32 s54, 128                                 // coordOffset0 d0=1 vc0=0
_v_add_co_u32 v4, vcc, v0, s54                     // coord0.2: coord0 += d0*sg0*VW + vc0
v_cmp_lt_u32 s[54:55], v4, s[sgprSizeI]            // coord0 < size0
v_cmp_lt_u32 s[58:59], v1, s[sgprSizeJ]            // coord1 < size1
s_and_b64 s[58:59], s[54:55], s[58:59]             // in0 && in1
_v_add_lshl_u32 v46, v3, v4, 0x1                   // scaleToBpe: accumulate d0 lower and *= bpe into Cin addr
v_cndmask_b32 v46, -1, v46, s[58:59]               // LDD clip if OOB. offset
/* (d1,vc1,d0,vc0)=(7,1,0,0) */
_v_add_co_u32 v1, vcc, v1, 1                       // coord1.1: coord1Vgpr += d1*sg1*VW + vc1

/* Fix for UseInitialStridesCD, emitAddressSetupCode */
_v_add_u32 v2, v2, s[sgprStrideC1J]                // ROWINC- Move cinRowPtr to next row
_v_add_u32 v3, v3, s[sgprStrideD1J]                // Move coutRowPtr to next row
v_cmp_lt_u32 s[54:55], v0, s[sgprSizeI]            // coord0 < size0
v_cmp_lt_u32 s[58:59], v1, s[sgprSizeJ]            // coord1 < size1
s_and_b64 s[58:59], s[54:55], s[58:59]             // in0 && in1
_v_add_lshl_u32 v50, v3, v0, 0x1                   // scaleToBpe: accumulate d0 lower and *= bpe into Cin addr
v_cndmask_b32 v50, -1, v50, s[58:59]               // LDD clip if OOB. offset
/* (d1,vc1,d0,vc0)=(7,1,1,0) */
s_mov_b32 s54, 128                                 // coordOffset0 d0=1 vc0=0
_v_add_co_u32 v4, vcc, v0, s54                     // coord0.2: coord0 += d0*sg0*VW + vc0
v_cmp_lt_u32 s[54:55], v4, s[sgprSizeI]            // coord0 < size0
v_cmp_lt_u32 s[58:59], v1, s[sgprSizeJ]            // coord1 < size1
s_and_b64 s[58:59], s[54:55], s[58:59]             // in0 && in1
_v_add_lshl_u32 v54, v3, v4, 0x1                   // scaleToBpe: accumulate d0 lower and *= bpe into Cin addr
v_cndmask_b32 v54, -1, v54, s[58:59]               // LDD clip if OOB. offset
/* (d1,vc1,d0,vc0)=(7,2,0,0) */
_v_add_co_u32 v1, vcc, v1, 1                       // coord1.1: coord1Vgpr += d1*sg1*VW + vc1

/* Fix for UseInitialStridesCD, emitAddressSetupCode */
_v_add_u32 v2, v2, s[sgprStrideC1J]                // ROWINC- Move cinRowPtr to next row
_v_add_u32 v3, v3, s[sgprStrideD1J]                // Move coutRowPtr to next row
	;; [unrolled: 19-line block ×3, first 2 shown]
v_cmp_lt_u32 s[54:55], v0, s[sgprSizeI]            // coord0 < size0
v_cmp_lt_u32 s[58:59], v1, s[sgprSizeJ]            // coord1 < size1
s_and_b64 s[58:59], s[54:55], s[58:59]             // in0 && in1
_v_add_lshl_u32 v66, v3, v0, 0x1                   // scaleToBpe: accumulate d0 lower and *= bpe into Cin addr
v_cndmask_b32 v66, -1, v66, s[58:59]               // LDD clip if OOB. offset
/* (d1,vc1,d0,vc0)=(7,3,1,0) */
s_mov_b32 s54, 128                                 // coordOffset0 d0=1 vc0=0
_v_add_co_u32 v4, vcc, v0, s54                     // coord0.2: coord0 += d0*sg0*VW + vc0
v_cmp_lt_u32 s[54:55], v4, s[sgprSizeI]            // coord0 < size0
v_cmp_lt_u32 s[58:59], v1, s[sgprSizeJ]            // coord1 < size1
s_and_b64 s[58:59], s[54:55], s[58:59]             // in0 && in1
_v_add_lshl_u32 v70, v3, v4, 0x1                   // scaleToBpe: accumulate d0 lower and *= bpe into Cin addr
v_cndmask_b32 v70, -1, v70, s[58:59]               // LDD clip if OOB. offset
v_accvgpr_read_b32 v[vgprValuC+12], acc72 // copy acc to vreg[96]
v_accvgpr_read_b32 v[vgprValuC+13], acc88 // copy acc to vreg[97]
v_accvgpr_read_b32 v[vgprValuC+16], acc104 // copy acc to vreg[98]
v_accvgpr_read_b32 v[vgprValuC+17], acc120 // copy acc to vreg[99]
v_accvgpr_read_b32 v[vgprValuC+20], acc73 // copy acc to vreg[100]
v_accvgpr_read_b32 v[vgprValuC+21], acc89 // copy acc to vreg[101]
v_accvgpr_read_b32 v[vgprValuC+24], acc105 // copy acc to vreg[102]
v_accvgpr_read_b32 v[vgprValuC+25], acc121 // copy acc to vreg[103]
v_accvgpr_read_b32 v[vgprValuC+28], acc74 // copy acc to vreg[104]
v_accvgpr_read_b32 v[vgprValuC+29], acc90 // copy acc to vreg[105]
v_accvgpr_read_b32 v[vgprValuC+32], acc106 // copy acc to vreg[106]
v_accvgpr_read_b32 v[vgprValuC+33], acc122 // copy acc to vreg[107]
v_accvgpr_read_b32 v[vgprValuC+36], acc75 // copy acc to vreg[108]
v_accvgpr_read_b32 v[vgprValuC+37], acc91 // copy acc to vreg[109]
v_accvgpr_read_b32 v[vgprValuC+40], acc107 // copy acc to vreg[110]
v_accvgpr_read_b32 v[vgprValuC+41], acc123 // copy acc to vreg[111]
v_accvgpr_read_b32 v[vgprValuC+44], acc76 // copy acc to vreg[112]
v_accvgpr_read_b32 v[vgprValuC+45], acc92 // copy acc to vreg[113]
v_accvgpr_read_b32 v[vgprValuC+48], acc108 // copy acc to vreg[114]
v_accvgpr_read_b32 v[vgprValuC+49], acc124 // copy acc to vreg[115]
v_accvgpr_read_b32 v[vgprValuC+52], acc77 // copy acc to vreg[116]
v_accvgpr_read_b32 v[vgprValuC+53], acc93 // copy acc to vreg[117]
v_accvgpr_read_b32 v[vgprValuC+56], acc109 // copy acc to vreg[118]
v_accvgpr_read_b32 v[vgprValuC+57], acc125 // copy acc to vreg[119]
v_accvgpr_read_b32 v[vgprValuC+60], acc78 // copy acc to vreg[120]
v_accvgpr_read_b32 v[vgprValuC+61], acc94 // copy acc to vreg[121]
v_accvgpr_read_b32 v[vgprValuC+64], acc110 // copy acc to vreg[122]
v_accvgpr_read_b32 v[vgprValuC+65], acc126 // copy acc to vreg[123]
v_accvgpr_read_b32 v[vgprValuC+68], acc79 // copy acc to vreg[124]
v_accvgpr_read_b32 v[vgprValuC+69], acc95 // copy acc to vreg[125]
v_accvgpr_read_b32 v[vgprValuC+72], acc111 // copy acc to vreg[126]
v_accvgpr_read_b32 v[vgprValuC+73], acc127 // copy acc to vreg[127]
s_nop 1                                            // 2 wait states required before reading vgpr

/* rC *= alpha batchElements=[(6, 0, 0, 0), (6, 1, 0, 0), (6, 0, 1, 0), (6, 1, 1, 0), (6, 0, 2, 0), (6, 1, 2, 0), (6, 0, 3, 0), (6, 1, 3, 0), (7, 0, 0, 0), (7, 1, 0, 0), (7, 0, 1, 0), (7, 1, 1, 0), (7, 0, 2, 0), (7, 1, 2, 0), (7, 0, 3, 0), (7, 1, 3, 0)] */
v_mul_f32 v[vgprValuC+12], s[sgprAlpha], v[vgprValuC+12] // *= alpha
v_mul_f32 v[vgprValuC+13], s[sgprAlpha], v[vgprValuC+13] // *= alpha
	;; [unrolled: 1-line block ×32, first 2 shown]

/* apply mask, calc new C and issue writes */
v_mov_b32 v7, 0xffff0000                           // mask for pack two bfloat16 element to 32bit
v_mov_b32 v8, 0x7fff0000                           // fp32 Nan
v_mov_b32 v9, 0x7fff                               // rounding bias for bfloat16
v_cmp_u_f32 s[54:55], v[vgprValuC+12], v[vgprValuC+12] // check Nan
v_bfe_u32 v6, v[vgprValuC+12], 16, 1               // Non-Nan case: store lsb of bf16
v_add3_u32 v6, v[vgprValuC+12], v6, v9             // Non-Nan case: add lsb and the increment for rounding
v_cndmask_b32 v[vgprValuC+12], v6, v8, s[54:55]    // 
v_lshrrev_b32 v[vgprValuC+12], 16, v[vgprValuC+12] // convert C to bf16
v_cmp_u_f32 s[54:55], v[vgprValuC+13], v[vgprValuC+13] // check Nan
v_bfe_u32 v6, v[vgprValuC+13], 16, 1               // Non-Nan case: store lsb of bf16
v_add3_u32 v6, v[vgprValuC+13], v6, v9             // Non-Nan case: add lsb and the increment for rounding
v_cndmask_b32 v[vgprValuC+13], v6, v8, s[54:55]    // 
v_and_or_b32 v12, v[vgprValuC+13], v7, v[vgprValuC+12] // pack two bf16 to dword
v_cmp_u_f32 s[54:55], v[vgprValuC+16], v[vgprValuC+16] // check Nan
v_bfe_u32 v6, v[vgprValuC+16], 16, 1               // Non-Nan case: store lsb of bf16
v_add3_u32 v6, v[vgprValuC+16], v6, v9             // Non-Nan case: add lsb and the increment for rounding
v_cndmask_b32 v[vgprValuC+16], v6, v8, s[54:55]    // 
v_lshrrev_b32 v[vgprValuC+16], 16, v[vgprValuC+16] // convert C to bf16
v_cmp_u_f32 s[54:55], v[vgprValuC+17], v[vgprValuC+17] // check Nan
v_bfe_u32 v6, v[vgprValuC+17], 16, 1               // Non-Nan case: store lsb of bf16
v_add3_u32 v6, v[vgprValuC+17], v6, v9             // Non-Nan case: add lsb and the increment for rounding
v_cndmask_b32 v[vgprValuC+17], v6, v8, s[54:55]    // 
v_and_or_b32 v16, v[vgprValuC+17], v7, v[vgprValuC+16] // pack two bf16 to dword
	;; [unrolled: 10-line block ×16, first 2 shown]
_buffer_store_b32 v12, v10, s[sgprSrdD:sgprSrdD+3], 0, offen, offset:0 // store D
_buffer_store_b32 v16, v14, s[sgprSrdD:sgprSrdD+3], 0, offen, offset:0 // store D
	;; [unrolled: 1-line block ×16, first 2 shown]
s_nop 0                                            // 1 wait state required when next inst writes vgprs held by previous dwordx4 store inst
/* optSingleColVgpr=0 optSharedColVgpr=0 optSGPRUsage=BufferLoad_Edge_Mask optSrdIncForRow=0 */
s_sleep 3 // optimization: sync and wait
s_barrier

/******************************************/
/* Global Write Alpha Edge Batch #4 (d1,d0,vc1,vc0) = */
/*    (8,0,0,0:vw2); (8,1,0,0:vw2); (8,0,1,0:vw2); (8,1,1,0:vw2); (8,0,2,0:vw2); (8,1,2,0:vw2); (8,0,3,0:vw2); (8,1,3,0:vw2); (9,0,0,0:vw2); (9,1,0,0:vw2); (9,0,1,0:vw2); (9,1,1,0:vw2); (9,0,2,0:vw2); (9,1,2,0:vw2); (9,0,3,0:vw2); (9,1,3,0:vw2) */
/******************************************/

/* calc coords, apply mask, and issue loads (if necessary) */
/* (d1,vc1,d0,vc0)=(8,0,0,0) */
_v_add_co_u32 v1, vcc, v1, 37                      // coord1.1: coord1Vgpr += d1*sg1*VW + vc1

/* Fix for UseInitialStridesCD, emitAddressSetupCode */
s_mul_i32 s54, s[sgprStrideC1J], 37                // scale stride
_v_add_u32 v2, v2, s54                             // ROWINC- Move cinRowPtr to next row
s_mul_i32 s54, s[sgprStrideD1J], 37                // scale stride
_v_add_u32 v3, v3, s54                             // Move coutRowPtr to next row
v_cmp_lt_u32 s[54:55], v0, s[sgprSizeI]            // coord0 < size0
v_cmp_lt_u32 s[58:59], v1, s[sgprSizeJ]            // coord1 < size1
s_and_b64 s[58:59], s[54:55], s[58:59]             // in0 && in1
_v_add_lshl_u32 v10, v3, v0, 0x1                   // scaleToBpe: accumulate d0 lower and *= bpe into Cin addr
v_cndmask_b32 v10, -1, v10, s[58:59]               // LDD clip if OOB. offset
/* (d1,vc1,d0,vc0)=(8,0,1,0) */
s_mov_b32 s54, 128                                 // coordOffset0 d0=1 vc0=0
_v_add_co_u32 v4, vcc, v0, s54                     // coord0.2: coord0 += d0*sg0*VW + vc0
v_cmp_lt_u32 s[54:55], v4, s[sgprSizeI]            // coord0 < size0
v_cmp_lt_u32 s[58:59], v1, s[sgprSizeJ]            // coord1 < size1
s_and_b64 s[58:59], s[54:55], s[58:59]             // in0 && in1
_v_add_lshl_u32 v14, v3, v4, 0x1                   // scaleToBpe: accumulate d0 lower and *= bpe into Cin addr
v_cndmask_b32 v14, -1, v14, s[58:59]               // LDD clip if OOB. offset
/* (d1,vc1,d0,vc0)=(8,1,0,0) */
_v_add_co_u32 v1, vcc, v1, 1                       // coord1.1: coord1Vgpr += d1*sg1*VW + vc1

/* Fix for UseInitialStridesCD, emitAddressSetupCode */
_v_add_u32 v2, v2, s[sgprStrideC1J]                // ROWINC- Move cinRowPtr to next row
_v_add_u32 v3, v3, s[sgprStrideD1J]                // Move coutRowPtr to next row
v_cmp_lt_u32 s[54:55], v0, s[sgprSizeI]            // coord0 < size0
v_cmp_lt_u32 s[58:59], v1, s[sgprSizeJ]            // coord1 < size1
s_and_b64 s[58:59], s[54:55], s[58:59]             // in0 && in1
_v_add_lshl_u32 v18, v3, v0, 0x1                   // scaleToBpe: accumulate d0 lower and *= bpe into Cin addr
v_cndmask_b32 v18, -1, v18, s[58:59]               // LDD clip if OOB. offset
/* (d1,vc1,d0,vc0)=(8,1,1,0) */
s_mov_b32 s54, 128                                 // coordOffset0 d0=1 vc0=0
_v_add_co_u32 v4, vcc, v0, s54                     // coord0.2: coord0 += d0*sg0*VW + vc0
v_cmp_lt_u32 s[54:55], v4, s[sgprSizeI]            // coord0 < size0
v_cmp_lt_u32 s[58:59], v1, s[sgprSizeJ]            // coord1 < size1
s_and_b64 s[58:59], s[54:55], s[58:59]             // in0 && in1
_v_add_lshl_u32 v22, v3, v4, 0x1                   // scaleToBpe: accumulate d0 lower and *= bpe into Cin addr
v_cndmask_b32 v22, -1, v22, s[58:59]               // LDD clip if OOB. offset
/* (d1,vc1,d0,vc0)=(8,2,0,0) */
_v_add_co_u32 v1, vcc, v1, 1                       // coord1.1: coord1Vgpr += d1*sg1*VW + vc1

/* Fix for UseInitialStridesCD, emitAddressSetupCode */
_v_add_u32 v2, v2, s[sgprStrideC1J]                // ROWINC- Move cinRowPtr to next row
_v_add_u32 v3, v3, s[sgprStrideD1J]                // Move coutRowPtr to next row
	;; [unrolled: 19-line block ×3, first 2 shown]
v_cmp_lt_u32 s[54:55], v0, s[sgprSizeI]            // coord0 < size0
v_cmp_lt_u32 s[58:59], v1, s[sgprSizeJ]            // coord1 < size1
s_and_b64 s[58:59], s[54:55], s[58:59]             // in0 && in1
_v_add_lshl_u32 v34, v3, v0, 0x1                   // scaleToBpe: accumulate d0 lower and *= bpe into Cin addr
v_cndmask_b32 v34, -1, v34, s[58:59]               // LDD clip if OOB. offset
/* (d1,vc1,d0,vc0)=(8,3,1,0) */
s_mov_b32 s54, 128                                 // coordOffset0 d0=1 vc0=0
_v_add_co_u32 v4, vcc, v0, s54                     // coord0.2: coord0 += d0*sg0*VW + vc0
v_cmp_lt_u32 s[54:55], v4, s[sgprSizeI]            // coord0 < size0
v_cmp_lt_u32 s[58:59], v1, s[sgprSizeJ]            // coord1 < size1
s_and_b64 s[58:59], s[54:55], s[58:59]             // in0 && in1
_v_add_lshl_u32 v38, v3, v4, 0x1                   // scaleToBpe: accumulate d0 lower and *= bpe into Cin addr
v_cndmask_b32 v38, -1, v38, s[58:59]               // LDD clip if OOB. offset
/* (d1,vc1,d0,vc0)=(9,0,0,0) */
_v_add_co_u32 v1, vcc, v1, 5                       // coord1.1: coord1Vgpr += d1*sg1*VW + vc1

/* Fix for UseInitialStridesCD, emitAddressSetupCode */
s_mul_i32 s54, s[sgprStrideC1J], 5                 // scale stride
_v_add_u32 v2, v2, s54                             // ROWINC- Move cinRowPtr to next row
s_mul_i32 s54, s[sgprStrideD1J], 5                 // scale stride
_v_add_u32 v3, v3, s54                             // Move coutRowPtr to next row
v_cmp_lt_u32 s[54:55], v0, s[sgprSizeI]            // coord0 < size0
v_cmp_lt_u32 s[58:59], v1, s[sgprSizeJ]            // coord1 < size1
s_and_b64 s[58:59], s[54:55], s[58:59]             // in0 && in1
_v_add_lshl_u32 v42, v3, v0, 0x1                   // scaleToBpe: accumulate d0 lower and *= bpe into Cin addr
v_cndmask_b32 v42, -1, v42, s[58:59]               // LDD clip if OOB. offset
/* (d1,vc1,d0,vc0)=(9,0,1,0) */
s_mov_b32 s54, 128                                 // coordOffset0 d0=1 vc0=0
_v_add_co_u32 v4, vcc, v0, s54                     // coord0.2: coord0 += d0*sg0*VW + vc0
v_cmp_lt_u32 s[54:55], v4, s[sgprSizeI]            // coord0 < size0
v_cmp_lt_u32 s[58:59], v1, s[sgprSizeJ]            // coord1 < size1
s_and_b64 s[58:59], s[54:55], s[58:59]             // in0 && in1
_v_add_lshl_u32 v46, v3, v4, 0x1                   // scaleToBpe: accumulate d0 lower and *= bpe into Cin addr
v_cndmask_b32 v46, -1, v46, s[58:59]               // LDD clip if OOB. offset
/* (d1,vc1,d0,vc0)=(9,1,0,0) */
_v_add_co_u32 v1, vcc, v1, 1                       // coord1.1: coord1Vgpr += d1*sg1*VW + vc1

/* Fix for UseInitialStridesCD, emitAddressSetupCode */
_v_add_u32 v2, v2, s[sgprStrideC1J]                // ROWINC- Move cinRowPtr to next row
_v_add_u32 v3, v3, s[sgprStrideD1J]                // Move coutRowPtr to next row
v_cmp_lt_u32 s[54:55], v0, s[sgprSizeI]            // coord0 < size0
v_cmp_lt_u32 s[58:59], v1, s[sgprSizeJ]            // coord1 < size1
s_and_b64 s[58:59], s[54:55], s[58:59]             // in0 && in1
_v_add_lshl_u32 v50, v3, v0, 0x1                   // scaleToBpe: accumulate d0 lower and *= bpe into Cin addr
v_cndmask_b32 v50, -1, v50, s[58:59]               // LDD clip if OOB. offset
/* (d1,vc1,d0,vc0)=(9,1,1,0) */
s_mov_b32 s54, 128                                 // coordOffset0 d0=1 vc0=0
_v_add_co_u32 v4, vcc, v0, s54                     // coord0.2: coord0 += d0*sg0*VW + vc0
v_cmp_lt_u32 s[54:55], v4, s[sgprSizeI]            // coord0 < size0
v_cmp_lt_u32 s[58:59], v1, s[sgprSizeJ]            // coord1 < size1
s_and_b64 s[58:59], s[54:55], s[58:59]             // in0 && in1
_v_add_lshl_u32 v54, v3, v4, 0x1                   // scaleToBpe: accumulate d0 lower and *= bpe into Cin addr
v_cndmask_b32 v54, -1, v54, s[58:59]               // LDD clip if OOB. offset
/* (d1,vc1,d0,vc0)=(9,2,0,0) */
_v_add_co_u32 v1, vcc, v1, 1                       // coord1.1: coord1Vgpr += d1*sg1*VW + vc1

/* Fix for UseInitialStridesCD, emitAddressSetupCode */
_v_add_u32 v2, v2, s[sgprStrideC1J]                // ROWINC- Move cinRowPtr to next row
_v_add_u32 v3, v3, s[sgprStrideD1J]                // Move coutRowPtr to next row
	;; [unrolled: 19-line block ×3, first 2 shown]
v_cmp_lt_u32 s[54:55], v0, s[sgprSizeI]            // coord0 < size0
v_cmp_lt_u32 s[58:59], v1, s[sgprSizeJ]            // coord1 < size1
s_and_b64 s[58:59], s[54:55], s[58:59]             // in0 && in1
_v_add_lshl_u32 v66, v3, v0, 0x1                   // scaleToBpe: accumulate d0 lower and *= bpe into Cin addr
v_cndmask_b32 v66, -1, v66, s[58:59]               // LDD clip if OOB. offset
/* (d1,vc1,d0,vc0)=(9,3,1,0) */
s_mov_b32 s54, 128                                 // coordOffset0 d0=1 vc0=0
_v_add_co_u32 v4, vcc, v0, s54                     // coord0.2: coord0 += d0*sg0*VW + vc0
v_cmp_lt_u32 s[54:55], v4, s[sgprSizeI]            // coord0 < size0
v_cmp_lt_u32 s[58:59], v1, s[sgprSizeJ]            // coord1 < size1
s_and_b64 s[58:59], s[54:55], s[58:59]             // in0 && in1
_v_add_lshl_u32 v70, v3, v4, 0x1                   // scaleToBpe: accumulate d0 lower and *= bpe into Cin addr
v_cndmask_b32 v70, -1, v70, s[58:59]               // LDD clip if OOB. offset
v_accvgpr_read_b32 v[vgprValuC+12], acc128 // copy acc to vreg[128]
v_accvgpr_read_b32 v[vgprValuC+13], acc144 // copy acc to vreg[129]
v_accvgpr_read_b32 v[vgprValuC+16], acc160 // copy acc to vreg[130]
v_accvgpr_read_b32 v[vgprValuC+17], acc176 // copy acc to vreg[131]
v_accvgpr_read_b32 v[vgprValuC+20], acc129 // copy acc to vreg[132]
v_accvgpr_read_b32 v[vgprValuC+21], acc145 // copy acc to vreg[133]
v_accvgpr_read_b32 v[vgprValuC+24], acc161 // copy acc to vreg[134]
v_accvgpr_read_b32 v[vgprValuC+25], acc177 // copy acc to vreg[135]
v_accvgpr_read_b32 v[vgprValuC+28], acc130 // copy acc to vreg[136]
v_accvgpr_read_b32 v[vgprValuC+29], acc146 // copy acc to vreg[137]
v_accvgpr_read_b32 v[vgprValuC+32], acc162 // copy acc to vreg[138]
v_accvgpr_read_b32 v[vgprValuC+33], acc178 // copy acc to vreg[139]
v_accvgpr_read_b32 v[vgprValuC+36], acc131 // copy acc to vreg[140]
v_accvgpr_read_b32 v[vgprValuC+37], acc147 // copy acc to vreg[141]
v_accvgpr_read_b32 v[vgprValuC+40], acc163 // copy acc to vreg[142]
v_accvgpr_read_b32 v[vgprValuC+41], acc179 // copy acc to vreg[143]
v_accvgpr_read_b32 v[vgprValuC+44], acc132 // copy acc to vreg[144]
v_accvgpr_read_b32 v[vgprValuC+45], acc148 // copy acc to vreg[145]
v_accvgpr_read_b32 v[vgprValuC+48], acc164 // copy acc to vreg[146]
v_accvgpr_read_b32 v[vgprValuC+49], acc180 // copy acc to vreg[147]
v_accvgpr_read_b32 v[vgprValuC+52], acc133 // copy acc to vreg[148]
v_accvgpr_read_b32 v[vgprValuC+53], acc149 // copy acc to vreg[149]
v_accvgpr_read_b32 v[vgprValuC+56], acc165 // copy acc to vreg[150]
v_accvgpr_read_b32 v[vgprValuC+57], acc181 // copy acc to vreg[151]
v_accvgpr_read_b32 v[vgprValuC+60], acc134 // copy acc to vreg[152]
v_accvgpr_read_b32 v[vgprValuC+61], acc150 // copy acc to vreg[153]
v_accvgpr_read_b32 v[vgprValuC+64], acc166 // copy acc to vreg[154]
v_accvgpr_read_b32 v[vgprValuC+65], acc182 // copy acc to vreg[155]
v_accvgpr_read_b32 v[vgprValuC+68], acc135 // copy acc to vreg[156]
v_accvgpr_read_b32 v[vgprValuC+69], acc151 // copy acc to vreg[157]
v_accvgpr_read_b32 v[vgprValuC+72], acc167 // copy acc to vreg[158]
v_accvgpr_read_b32 v[vgprValuC+73], acc183 // copy acc to vreg[159]
s_nop 1                                            // 2 wait states required before reading vgpr

/* rC *= alpha batchElements=[(8, 0, 0, 0), (8, 1, 0, 0), (8, 0, 1, 0), (8, 1, 1, 0), (8, 0, 2, 0), (8, 1, 2, 0), (8, 0, 3, 0), (8, 1, 3, 0), (9, 0, 0, 0), (9, 1, 0, 0), (9, 0, 1, 0), (9, 1, 1, 0), (9, 0, 2, 0), (9, 1, 2, 0), (9, 0, 3, 0), (9, 1, 3, 0)] */
v_mul_f32 v[vgprValuC+12], s[sgprAlpha], v[vgprValuC+12] // *= alpha
v_mul_f32 v[vgprValuC+13], s[sgprAlpha], v[vgprValuC+13] // *= alpha
	;; [unrolled: 1-line block ×32, first 2 shown]

/* apply mask, calc new C and issue writes */
v_mov_b32 v7, 0xffff0000                           // mask for pack two bfloat16 element to 32bit
v_mov_b32 v8, 0x7fff0000                           // fp32 Nan
v_mov_b32 v9, 0x7fff                               // rounding bias for bfloat16
v_cmp_u_f32 s[54:55], v[vgprValuC+12], v[vgprValuC+12] // check Nan
v_bfe_u32 v6, v[vgprValuC+12], 16, 1               // Non-Nan case: store lsb of bf16
v_add3_u32 v6, v[vgprValuC+12], v6, v9             // Non-Nan case: add lsb and the increment for rounding
v_cndmask_b32 v[vgprValuC+12], v6, v8, s[54:55]    // 
v_lshrrev_b32 v[vgprValuC+12], 16, v[vgprValuC+12] // convert C to bf16
v_cmp_u_f32 s[54:55], v[vgprValuC+13], v[vgprValuC+13] // check Nan
v_bfe_u32 v6, v[vgprValuC+13], 16, 1               // Non-Nan case: store lsb of bf16
v_add3_u32 v6, v[vgprValuC+13], v6, v9             // Non-Nan case: add lsb and the increment for rounding
v_cndmask_b32 v[vgprValuC+13], v6, v8, s[54:55]    // 
v_and_or_b32 v12, v[vgprValuC+13], v7, v[vgprValuC+12] // pack two bf16 to dword
v_cmp_u_f32 s[54:55], v[vgprValuC+16], v[vgprValuC+16] // check Nan
v_bfe_u32 v6, v[vgprValuC+16], 16, 1               // Non-Nan case: store lsb of bf16
v_add3_u32 v6, v[vgprValuC+16], v6, v9             // Non-Nan case: add lsb and the increment for rounding
v_cndmask_b32 v[vgprValuC+16], v6, v8, s[54:55]    // 
v_lshrrev_b32 v[vgprValuC+16], 16, v[vgprValuC+16] // convert C to bf16
v_cmp_u_f32 s[54:55], v[vgprValuC+17], v[vgprValuC+17] // check Nan
v_bfe_u32 v6, v[vgprValuC+17], 16, 1               // Non-Nan case: store lsb of bf16
v_add3_u32 v6, v[vgprValuC+17], v6, v9             // Non-Nan case: add lsb and the increment for rounding
v_cndmask_b32 v[vgprValuC+17], v6, v8, s[54:55]    // 
v_and_or_b32 v16, v[vgprValuC+17], v7, v[vgprValuC+16] // pack two bf16 to dword
	;; [unrolled: 10-line block ×16, first 2 shown]
_buffer_store_b32 v12, v10, s[sgprSrdD:sgprSrdD+3], 0, offen, offset:0 // store D
_buffer_store_b32 v16, v14, s[sgprSrdD:sgprSrdD+3], 0, offen, offset:0 // store D
	;; [unrolled: 1-line block ×16, first 2 shown]
s_nop 0                                            // 1 wait state required when next inst writes vgprs held by previous dwordx4 store inst
/* optSingleColVgpr=0 optSharedColVgpr=0 optSGPRUsage=BufferLoad_Edge_Mask optSrdIncForRow=0 */
s_sleep 3 // optimization: sync and wait
s_barrier

/******************************************/
/* Global Write Alpha Edge Batch #5 (d1,d0,vc1,vc0) = */
/*    (10,0,0,0:vw2); (10,1,0,0:vw2); (10,0,1,0:vw2); (10,1,1,0:vw2); (10,0,2,0:vw2); (10,1,2,0:vw2); (10,0,3,0:vw2); (10,1,3,0:vw2); (11,0,0,0:vw2); (11,1,0,0:vw2); (11,0,1,0:vw2); (11,1,1,0:vw2); (11,0,2,0:vw2); (11,1,2,0:vw2); (11,0,3,0:vw2); (11,1,3,0:vw2) */
/******************************************/

/* calc coords, apply mask, and issue loads (if necessary) */
/* (d1,vc1,d0,vc0)=(10,0,0,0) */
_v_add_co_u32 v1, vcc, v1, 5                       // coord1.1: coord1Vgpr += d1*sg1*VW + vc1

/* Fix for UseInitialStridesCD, emitAddressSetupCode */
s_mul_i32 s54, s[sgprStrideC1J], 5                 // scale stride
_v_add_u32 v2, v2, s54                             // ROWINC- Move cinRowPtr to next row
s_mul_i32 s54, s[sgprStrideD1J], 5                 // scale stride
_v_add_u32 v3, v3, s54                             // Move coutRowPtr to next row
v_cmp_lt_u32 s[54:55], v0, s[sgprSizeI]            // coord0 < size0
v_cmp_lt_u32 s[58:59], v1, s[sgprSizeJ]            // coord1 < size1
s_and_b64 s[58:59], s[54:55], s[58:59]             // in0 && in1
_v_add_lshl_u32 v10, v3, v0, 0x1                   // scaleToBpe: accumulate d0 lower and *= bpe into Cin addr
v_cndmask_b32 v10, -1, v10, s[58:59]               // LDD clip if OOB. offset
/* (d1,vc1,d0,vc0)=(10,0,1,0) */
s_mov_b32 s54, 128                                 // coordOffset0 d0=1 vc0=0
_v_add_co_u32 v4, vcc, v0, s54                     // coord0.2: coord0 += d0*sg0*VW + vc0
v_cmp_lt_u32 s[54:55], v4, s[sgprSizeI]            // coord0 < size0
v_cmp_lt_u32 s[58:59], v1, s[sgprSizeJ]            // coord1 < size1
s_and_b64 s[58:59], s[54:55], s[58:59]             // in0 && in1
_v_add_lshl_u32 v14, v3, v4, 0x1                   // scaleToBpe: accumulate d0 lower and *= bpe into Cin addr
v_cndmask_b32 v14, -1, v14, s[58:59]               // LDD clip if OOB. offset
/* (d1,vc1,d0,vc0)=(10,1,0,0) */
_v_add_co_u32 v1, vcc, v1, 1                       // coord1.1: coord1Vgpr += d1*sg1*VW + vc1

/* Fix for UseInitialStridesCD, emitAddressSetupCode */
_v_add_u32 v2, v2, s[sgprStrideC1J]                // ROWINC- Move cinRowPtr to next row
_v_add_u32 v3, v3, s[sgprStrideD1J]                // Move coutRowPtr to next row
v_cmp_lt_u32 s[54:55], v0, s[sgprSizeI]            // coord0 < size0
v_cmp_lt_u32 s[58:59], v1, s[sgprSizeJ]            // coord1 < size1
s_and_b64 s[58:59], s[54:55], s[58:59]             // in0 && in1
_v_add_lshl_u32 v18, v3, v0, 0x1                   // scaleToBpe: accumulate d0 lower and *= bpe into Cin addr
v_cndmask_b32 v18, -1, v18, s[58:59]               // LDD clip if OOB. offset
/* (d1,vc1,d0,vc0)=(10,1,1,0) */
s_mov_b32 s54, 128                                 // coordOffset0 d0=1 vc0=0
_v_add_co_u32 v4, vcc, v0, s54                     // coord0.2: coord0 += d0*sg0*VW + vc0
v_cmp_lt_u32 s[54:55], v4, s[sgprSizeI]            // coord0 < size0
v_cmp_lt_u32 s[58:59], v1, s[sgprSizeJ]            // coord1 < size1
s_and_b64 s[58:59], s[54:55], s[58:59]             // in0 && in1
_v_add_lshl_u32 v22, v3, v4, 0x1                   // scaleToBpe: accumulate d0 lower and *= bpe into Cin addr
v_cndmask_b32 v22, -1, v22, s[58:59]               // LDD clip if OOB. offset
/* (d1,vc1,d0,vc0)=(10,2,0,0) */
_v_add_co_u32 v1, vcc, v1, 1                       // coord1.1: coord1Vgpr += d1*sg1*VW + vc1

/* Fix for UseInitialStridesCD, emitAddressSetupCode */
_v_add_u32 v2, v2, s[sgprStrideC1J]                // ROWINC- Move cinRowPtr to next row
_v_add_u32 v3, v3, s[sgprStrideD1J]                // Move coutRowPtr to next row
	;; [unrolled: 19-line block ×3, first 2 shown]
v_cmp_lt_u32 s[54:55], v0, s[sgprSizeI]            // coord0 < size0
v_cmp_lt_u32 s[58:59], v1, s[sgprSizeJ]            // coord1 < size1
s_and_b64 s[58:59], s[54:55], s[58:59]             // in0 && in1
_v_add_lshl_u32 v34, v3, v0, 0x1                   // scaleToBpe: accumulate d0 lower and *= bpe into Cin addr
v_cndmask_b32 v34, -1, v34, s[58:59]               // LDD clip if OOB. offset
/* (d1,vc1,d0,vc0)=(10,3,1,0) */
s_mov_b32 s54, 128                                 // coordOffset0 d0=1 vc0=0
_v_add_co_u32 v4, vcc, v0, s54                     // coord0.2: coord0 += d0*sg0*VW + vc0
v_cmp_lt_u32 s[54:55], v4, s[sgprSizeI]            // coord0 < size0
v_cmp_lt_u32 s[58:59], v1, s[sgprSizeJ]            // coord1 < size1
s_and_b64 s[58:59], s[54:55], s[58:59]             // in0 && in1
_v_add_lshl_u32 v38, v3, v4, 0x1                   // scaleToBpe: accumulate d0 lower and *= bpe into Cin addr
v_cndmask_b32 v38, -1, v38, s[58:59]               // LDD clip if OOB. offset
/* (d1,vc1,d0,vc0)=(11,0,0,0) */
_v_add_co_u32 v1, vcc, v1, 5                       // coord1.1: coord1Vgpr += d1*sg1*VW + vc1

/* Fix for UseInitialStridesCD, emitAddressSetupCode */
s_mul_i32 s54, s[sgprStrideC1J], 5                 // scale stride
_v_add_u32 v2, v2, s54                             // ROWINC- Move cinRowPtr to next row
s_mul_i32 s54, s[sgprStrideD1J], 5                 // scale stride
_v_add_u32 v3, v3, s54                             // Move coutRowPtr to next row
v_cmp_lt_u32 s[54:55], v0, s[sgprSizeI]            // coord0 < size0
v_cmp_lt_u32 s[58:59], v1, s[sgprSizeJ]            // coord1 < size1
s_and_b64 s[58:59], s[54:55], s[58:59]             // in0 && in1
_v_add_lshl_u32 v42, v3, v0, 0x1                   // scaleToBpe: accumulate d0 lower and *= bpe into Cin addr
v_cndmask_b32 v42, -1, v42, s[58:59]               // LDD clip if OOB. offset
/* (d1,vc1,d0,vc0)=(11,0,1,0) */
s_mov_b32 s54, 128                                 // coordOffset0 d0=1 vc0=0
_v_add_co_u32 v4, vcc, v0, s54                     // coord0.2: coord0 += d0*sg0*VW + vc0
v_cmp_lt_u32 s[54:55], v4, s[sgprSizeI]            // coord0 < size0
v_cmp_lt_u32 s[58:59], v1, s[sgprSizeJ]            // coord1 < size1
s_and_b64 s[58:59], s[54:55], s[58:59]             // in0 && in1
_v_add_lshl_u32 v46, v3, v4, 0x1                   // scaleToBpe: accumulate d0 lower and *= bpe into Cin addr
v_cndmask_b32 v46, -1, v46, s[58:59]               // LDD clip if OOB. offset
/* (d1,vc1,d0,vc0)=(11,1,0,0) */
_v_add_co_u32 v1, vcc, v1, 1                       // coord1.1: coord1Vgpr += d1*sg1*VW + vc1

/* Fix for UseInitialStridesCD, emitAddressSetupCode */
_v_add_u32 v2, v2, s[sgprStrideC1J]                // ROWINC- Move cinRowPtr to next row
_v_add_u32 v3, v3, s[sgprStrideD1J]                // Move coutRowPtr to next row
v_cmp_lt_u32 s[54:55], v0, s[sgprSizeI]            // coord0 < size0
v_cmp_lt_u32 s[58:59], v1, s[sgprSizeJ]            // coord1 < size1
s_and_b64 s[58:59], s[54:55], s[58:59]             // in0 && in1
_v_add_lshl_u32 v50, v3, v0, 0x1                   // scaleToBpe: accumulate d0 lower and *= bpe into Cin addr
v_cndmask_b32 v50, -1, v50, s[58:59]               // LDD clip if OOB. offset
/* (d1,vc1,d0,vc0)=(11,1,1,0) */
s_mov_b32 s54, 128                                 // coordOffset0 d0=1 vc0=0
_v_add_co_u32 v4, vcc, v0, s54                     // coord0.2: coord0 += d0*sg0*VW + vc0
v_cmp_lt_u32 s[54:55], v4, s[sgprSizeI]            // coord0 < size0
v_cmp_lt_u32 s[58:59], v1, s[sgprSizeJ]            // coord1 < size1
s_and_b64 s[58:59], s[54:55], s[58:59]             // in0 && in1
_v_add_lshl_u32 v54, v3, v4, 0x1                   // scaleToBpe: accumulate d0 lower and *= bpe into Cin addr
v_cndmask_b32 v54, -1, v54, s[58:59]               // LDD clip if OOB. offset
/* (d1,vc1,d0,vc0)=(11,2,0,0) */
_v_add_co_u32 v1, vcc, v1, 1                       // coord1.1: coord1Vgpr += d1*sg1*VW + vc1

/* Fix for UseInitialStridesCD, emitAddressSetupCode */
_v_add_u32 v2, v2, s[sgprStrideC1J]                // ROWINC- Move cinRowPtr to next row
_v_add_u32 v3, v3, s[sgprStrideD1J]                // Move coutRowPtr to next row
	;; [unrolled: 19-line block ×3, first 2 shown]
v_cmp_lt_u32 s[54:55], v0, s[sgprSizeI]            // coord0 < size0
v_cmp_lt_u32 s[58:59], v1, s[sgprSizeJ]            // coord1 < size1
s_and_b64 s[58:59], s[54:55], s[58:59]             // in0 && in1
_v_add_lshl_u32 v66, v3, v0, 0x1                   // scaleToBpe: accumulate d0 lower and *= bpe into Cin addr
v_cndmask_b32 v66, -1, v66, s[58:59]               // LDD clip if OOB. offset
/* (d1,vc1,d0,vc0)=(11,3,1,0) */
s_mov_b32 s54, 128                                 // coordOffset0 d0=1 vc0=0
_v_add_co_u32 v4, vcc, v0, s54                     // coord0.2: coord0 += d0*sg0*VW + vc0
v_cmp_lt_u32 s[54:55], v4, s[sgprSizeI]            // coord0 < size0
v_cmp_lt_u32 s[58:59], v1, s[sgprSizeJ]            // coord1 < size1
s_and_b64 s[58:59], s[54:55], s[58:59]             // in0 && in1
_v_add_lshl_u32 v70, v3, v4, 0x1                   // scaleToBpe: accumulate d0 lower and *= bpe into Cin addr
v_cndmask_b32 v70, -1, v70, s[58:59]               // LDD clip if OOB. offset
v_accvgpr_read_b32 v[vgprValuC+12], acc136 // copy acc to vreg[160]
v_accvgpr_read_b32 v[vgprValuC+13], acc152 // copy acc to vreg[161]
v_accvgpr_read_b32 v[vgprValuC+16], acc168 // copy acc to vreg[162]
v_accvgpr_read_b32 v[vgprValuC+17], acc184 // copy acc to vreg[163]
v_accvgpr_read_b32 v[vgprValuC+20], acc137 // copy acc to vreg[164]
v_accvgpr_read_b32 v[vgprValuC+21], acc153 // copy acc to vreg[165]
v_accvgpr_read_b32 v[vgprValuC+24], acc169 // copy acc to vreg[166]
v_accvgpr_read_b32 v[vgprValuC+25], acc185 // copy acc to vreg[167]
v_accvgpr_read_b32 v[vgprValuC+28], acc138 // copy acc to vreg[168]
v_accvgpr_read_b32 v[vgprValuC+29], acc154 // copy acc to vreg[169]
v_accvgpr_read_b32 v[vgprValuC+32], acc170 // copy acc to vreg[170]
v_accvgpr_read_b32 v[vgprValuC+33], acc186 // copy acc to vreg[171]
v_accvgpr_read_b32 v[vgprValuC+36], acc139 // copy acc to vreg[172]
v_accvgpr_read_b32 v[vgprValuC+37], acc155 // copy acc to vreg[173]
v_accvgpr_read_b32 v[vgprValuC+40], acc171 // copy acc to vreg[174]
v_accvgpr_read_b32 v[vgprValuC+41], acc187 // copy acc to vreg[175]
v_accvgpr_read_b32 v[vgprValuC+44], acc140 // copy acc to vreg[176]
v_accvgpr_read_b32 v[vgprValuC+45], acc156 // copy acc to vreg[177]
v_accvgpr_read_b32 v[vgprValuC+48], acc172 // copy acc to vreg[178]
v_accvgpr_read_b32 v[vgprValuC+49], acc188 // copy acc to vreg[179]
v_accvgpr_read_b32 v[vgprValuC+52], acc141 // copy acc to vreg[180]
v_accvgpr_read_b32 v[vgprValuC+53], acc157 // copy acc to vreg[181]
v_accvgpr_read_b32 v[vgprValuC+56], acc173 // copy acc to vreg[182]
v_accvgpr_read_b32 v[vgprValuC+57], acc189 // copy acc to vreg[183]
v_accvgpr_read_b32 v[vgprValuC+60], acc142 // copy acc to vreg[184]
v_accvgpr_read_b32 v[vgprValuC+61], acc158 // copy acc to vreg[185]
v_accvgpr_read_b32 v[vgprValuC+64], acc174 // copy acc to vreg[186]
v_accvgpr_read_b32 v[vgprValuC+65], acc190 // copy acc to vreg[187]
v_accvgpr_read_b32 v[vgprValuC+68], acc143 // copy acc to vreg[188]
v_accvgpr_read_b32 v[vgprValuC+69], acc159 // copy acc to vreg[189]
v_accvgpr_read_b32 v[vgprValuC+72], acc175 // copy acc to vreg[190]
v_accvgpr_read_b32 v[vgprValuC+73], acc191 // copy acc to vreg[191]
s_nop 1                                            // 2 wait states required before reading vgpr

/* rC *= alpha batchElements=[(10, 0, 0, 0), (10, 1, 0, 0), (10, 0, 1, 0), (10, 1, 1, 0), (10, 0, 2, 0), (10, 1, 2, 0), (10, 0, 3, 0), (10, 1, 3, 0), (11, 0, 0, 0), (11, 1, 0, 0), (11, 0, 1, 0), (11, 1, 1, 0), (11, 0, 2, 0), (11, 1, 2, 0), (11, 0, 3, 0), (11, 1, 3, 0)] */
v_mul_f32 v[vgprValuC+12], s[sgprAlpha], v[vgprValuC+12] // *= alpha
v_mul_f32 v[vgprValuC+13], s[sgprAlpha], v[vgprValuC+13] // *= alpha
v_mul_f32 v[vgprValuC+16], s[sgprAlpha], v[vgprValuC+16] // *= alpha
v_mul_f32 v[vgprValuC+17], s[sgprAlpha], v[vgprValuC+17] // *= alpha
v_mul_f32 v[vgprValuC+20], s[sgprAlpha], v[vgprValuC+20] // *= alpha
v_mul_f32 v[vgprValuC+21], s[sgprAlpha], v[vgprValuC+21] // *= alpha
v_mul_f32 v[vgprValuC+24], s[sgprAlpha], v[vgprValuC+24] // *= alpha
v_mul_f32 v[vgprValuC+25], s[sgprAlpha], v[vgprValuC+25] // *= alpha
v_mul_f32 v[vgprValuC+28], s[sgprAlpha], v[vgprValuC+28] // *= alpha
v_mul_f32 v[vgprValuC+29], s[sgprAlpha], v[vgprValuC+29] // *= alpha
v_mul_f32 v[vgprValuC+32], s[sgprAlpha], v[vgprValuC+32] // *= alpha
v_mul_f32 v[vgprValuC+33], s[sgprAlpha], v[vgprValuC+33] // *= alpha
v_mul_f32 v[vgprValuC+36], s[sgprAlpha], v[vgprValuC+36] // *= alpha
v_mul_f32 v[vgprValuC+37], s[sgprAlpha], v[vgprValuC+37] // *= alpha
v_mul_f32 v[vgprValuC+40], s[sgprAlpha], v[vgprValuC+40] // *= alpha
v_mul_f32 v[vgprValuC+41], s[sgprAlpha], v[vgprValuC+41] // *= alpha
v_mul_f32 v[vgprValuC+44], s[sgprAlpha], v[vgprValuC+44] // *= alpha
v_mul_f32 v[vgprValuC+45], s[sgprAlpha], v[vgprValuC+45] // *= alpha
v_mul_f32 v[vgprValuC+48], s[sgprAlpha], v[vgprValuC+48] // *= alpha
v_mul_f32 v[vgprValuC+49], s[sgprAlpha], v[vgprValuC+49] // *= alpha
v_mul_f32 v[vgprValuC+52], s[sgprAlpha], v[vgprValuC+52] // *= alpha
v_mul_f32 v[vgprValuC+53], s[sgprAlpha], v[vgprValuC+53] // *= alpha
v_mul_f32 v[vgprValuC+56], s[sgprAlpha], v[vgprValuC+56] // *= alpha
v_mul_f32 v[vgprValuC+57], s[sgprAlpha], v[vgprValuC+57] // *= alpha
v_mul_f32 v[vgprValuC+60], s[sgprAlpha], v[vgprValuC+60] // *= alpha
v_mul_f32 v[vgprValuC+61], s[sgprAlpha], v[vgprValuC+61] // *= alpha
v_mul_f32 v[vgprValuC+64], s[sgprAlpha], v[vgprValuC+64] // *= alpha
v_mul_f32 v[vgprValuC+65], s[sgprAlpha], v[vgprValuC+65] // *= alpha
v_mul_f32 v[vgprValuC+68], s[sgprAlpha], v[vgprValuC+68] // *= alpha
v_mul_f32 v[vgprValuC+69], s[sgprAlpha], v[vgprValuC+69] // *= alpha
v_mul_f32 v[vgprValuC+72], s[sgprAlpha], v[vgprValuC+72] // *= alpha
v_mul_f32 v[vgprValuC+73], s[sgprAlpha], v[vgprValuC+73] // *= alpha

/* apply mask, calc new C and issue writes */
v_mov_b32 v7, 0xffff0000                           // mask for pack two bfloat16 element to 32bit
v_mov_b32 v8, 0x7fff0000                           // fp32 Nan
v_mov_b32 v9, 0x7fff                               // rounding bias for bfloat16
v_cmp_u_f32 s[54:55], v[vgprValuC+12], v[vgprValuC+12] // check Nan
v_bfe_u32 v6, v[vgprValuC+12], 16, 1               // Non-Nan case: store lsb of bf16
v_add3_u32 v6, v[vgprValuC+12], v6, v9             // Non-Nan case: add lsb and the increment for rounding
v_cndmask_b32 v[vgprValuC+12], v6, v8, s[54:55]    // 
v_lshrrev_b32 v[vgprValuC+12], 16, v[vgprValuC+12] // convert C to bf16
v_cmp_u_f32 s[54:55], v[vgprValuC+13], v[vgprValuC+13] // check Nan
v_bfe_u32 v6, v[vgprValuC+13], 16, 1               // Non-Nan case: store lsb of bf16
v_add3_u32 v6, v[vgprValuC+13], v6, v9             // Non-Nan case: add lsb and the increment for rounding
v_cndmask_b32 v[vgprValuC+13], v6, v8, s[54:55]    // 
v_and_or_b32 v12, v[vgprValuC+13], v7, v[vgprValuC+12] // pack two bf16 to dword
v_cmp_u_f32 s[54:55], v[vgprValuC+16], v[vgprValuC+16] // check Nan
v_bfe_u32 v6, v[vgprValuC+16], 16, 1               // Non-Nan case: store lsb of bf16
v_add3_u32 v6, v[vgprValuC+16], v6, v9             // Non-Nan case: add lsb and the increment for rounding
v_cndmask_b32 v[vgprValuC+16], v6, v8, s[54:55]    // 
v_lshrrev_b32 v[vgprValuC+16], 16, v[vgprValuC+16] // convert C to bf16
v_cmp_u_f32 s[54:55], v[vgprValuC+17], v[vgprValuC+17] // check Nan
v_bfe_u32 v6, v[vgprValuC+17], 16, 1               // Non-Nan case: store lsb of bf16
v_add3_u32 v6, v[vgprValuC+17], v6, v9             // Non-Nan case: add lsb and the increment for rounding
v_cndmask_b32 v[vgprValuC+17], v6, v8, s[54:55]    // 
v_and_or_b32 v16, v[vgprValuC+17], v7, v[vgprValuC+16] // pack two bf16 to dword
	;; [unrolled: 10-line block ×16, first 2 shown]
_buffer_store_b32 v12, v10, s[sgprSrdD:sgprSrdD+3], 0, offen, offset:0 // store D
_buffer_store_b32 v16, v14, s[sgprSrdD:sgprSrdD+3], 0, offen, offset:0 // store D
	;; [unrolled: 1-line block ×16, first 2 shown]
s_nop 0                                            // 1 wait state required when next inst writes vgprs held by previous dwordx4 store inst
/* optSingleColVgpr=0 optSharedColVgpr=0 optSGPRUsage=BufferLoad_Edge_Mask optSrdIncForRow=0 */
s_sleep 3 // optimization: sync and wait
s_barrier

/******************************************/
/* Global Write Alpha Edge Batch #6 (d1,d0,vc1,vc0) = */
/*    (12,0,0,0:vw2); (12,1,0,0:vw2); (12,0,1,0:vw2); (12,1,1,0:vw2); (12,0,2,0:vw2); (12,1,2,0:vw2); (12,0,3,0:vw2); (12,1,3,0:vw2); (13,0,0,0:vw2); (13,1,0,0:vw2); (13,0,1,0:vw2); (13,1,1,0:vw2); (13,0,2,0:vw2); (13,1,2,0:vw2); (13,0,3,0:vw2); (13,1,3,0:vw2) */
/******************************************/

/* calc coords, apply mask, and issue loads (if necessary) */
/* (d1,vc1,d0,vc0)=(12,0,0,0) */
_v_add_co_u32 v1, vcc, v1, 37                      // coord1.1: coord1Vgpr += d1*sg1*VW + vc1

/* Fix for UseInitialStridesCD, emitAddressSetupCode */
s_mul_i32 s54, s[sgprStrideC1J], 37                // scale stride
_v_add_u32 v2, v2, s54                             // ROWINC- Move cinRowPtr to next row
s_mul_i32 s54, s[sgprStrideD1J], 37                // scale stride
_v_add_u32 v3, v3, s54                             // Move coutRowPtr to next row
v_cmp_lt_u32 s[54:55], v0, s[sgprSizeI]            // coord0 < size0
v_cmp_lt_u32 s[58:59], v1, s[sgprSizeJ]            // coord1 < size1
s_and_b64 s[58:59], s[54:55], s[58:59]             // in0 && in1
_v_add_lshl_u32 v10, v3, v0, 0x1                   // scaleToBpe: accumulate d0 lower and *= bpe into Cin addr
v_cndmask_b32 v10, -1, v10, s[58:59]               // LDD clip if OOB. offset
/* (d1,vc1,d0,vc0)=(12,0,1,0) */
s_mov_b32 s54, 128                                 // coordOffset0 d0=1 vc0=0
_v_add_co_u32 v4, vcc, v0, s54                     // coord0.2: coord0 += d0*sg0*VW + vc0
v_cmp_lt_u32 s[54:55], v4, s[sgprSizeI]            // coord0 < size0
v_cmp_lt_u32 s[58:59], v1, s[sgprSizeJ]            // coord1 < size1
s_and_b64 s[58:59], s[54:55], s[58:59]             // in0 && in1
_v_add_lshl_u32 v14, v3, v4, 0x1                   // scaleToBpe: accumulate d0 lower and *= bpe into Cin addr
v_cndmask_b32 v14, -1, v14, s[58:59]               // LDD clip if OOB. offset
/* (d1,vc1,d0,vc0)=(12,1,0,0) */
_v_add_co_u32 v1, vcc, v1, 1                       // coord1.1: coord1Vgpr += d1*sg1*VW + vc1

/* Fix for UseInitialStridesCD, emitAddressSetupCode */
_v_add_u32 v2, v2, s[sgprStrideC1J]                // ROWINC- Move cinRowPtr to next row
_v_add_u32 v3, v3, s[sgprStrideD1J]                // Move coutRowPtr to next row
v_cmp_lt_u32 s[54:55], v0, s[sgprSizeI]            // coord0 < size0
v_cmp_lt_u32 s[58:59], v1, s[sgprSizeJ]            // coord1 < size1
s_and_b64 s[58:59], s[54:55], s[58:59]             // in0 && in1
_v_add_lshl_u32 v18, v3, v0, 0x1                   // scaleToBpe: accumulate d0 lower and *= bpe into Cin addr
v_cndmask_b32 v18, -1, v18, s[58:59]               // LDD clip if OOB. offset
/* (d1,vc1,d0,vc0)=(12,1,1,0) */
s_mov_b32 s54, 128                                 // coordOffset0 d0=1 vc0=0
_v_add_co_u32 v4, vcc, v0, s54                     // coord0.2: coord0 += d0*sg0*VW + vc0
v_cmp_lt_u32 s[54:55], v4, s[sgprSizeI]            // coord0 < size0
v_cmp_lt_u32 s[58:59], v1, s[sgprSizeJ]            // coord1 < size1
s_and_b64 s[58:59], s[54:55], s[58:59]             // in0 && in1
_v_add_lshl_u32 v22, v3, v4, 0x1                   // scaleToBpe: accumulate d0 lower and *= bpe into Cin addr
v_cndmask_b32 v22, -1, v22, s[58:59]               // LDD clip if OOB. offset
/* (d1,vc1,d0,vc0)=(12,2,0,0) */
_v_add_co_u32 v1, vcc, v1, 1                       // coord1.1: coord1Vgpr += d1*sg1*VW + vc1

/* Fix for UseInitialStridesCD, emitAddressSetupCode */
_v_add_u32 v2, v2, s[sgprStrideC1J]                // ROWINC- Move cinRowPtr to next row
_v_add_u32 v3, v3, s[sgprStrideD1J]                // Move coutRowPtr to next row
v_cmp_lt_u32 s[54:55], v0, s[sgprSizeI]            // coord0 < size0
v_cmp_lt_u32 s[58:59], v1, s[sgprSizeJ]            // coord1 < size1
s_and_b64 s[58:59], s[54:55], s[58:59]             // in0 && in1
_v_add_lshl_u32 v26, v3, v0, 0x1                   // scaleToBpe: accumulate d0 lower and *= bpe into Cin addr
v_cndmask_b32 v26, -1, v26, s[58:59]               // LDD clip if OOB. offset
/* (d1,vc1,d0,vc0)=(12,2,1,0) */
s_mov_b32 s54, 128                                 // coordOffset0 d0=1 vc0=0
_v_add_co_u32 v4, vcc, v0, s54                     // coord0.2: coord0 += d0*sg0*VW + vc0
v_cmp_lt_u32 s[54:55], v4, s[sgprSizeI]            // coord0 < size0
v_cmp_lt_u32 s[58:59], v1, s[sgprSizeJ]            // coord1 < size1
s_and_b64 s[58:59], s[54:55], s[58:59]             // in0 && in1
_v_add_lshl_u32 v30, v3, v4, 0x1                   // scaleToBpe: accumulate d0 lower and *= bpe into Cin addr
v_cndmask_b32 v30, -1, v30, s[58:59]               // LDD clip if OOB. offset
/* (d1,vc1,d0,vc0)=(12,3,0,0) */
_v_add_co_u32 v1, vcc, v1, 1                       // coord1.1: coord1Vgpr += d1*sg1*VW + vc1

/* Fix for UseInitialStridesCD, emitAddressSetupCode */
_v_add_u32 v2, v2, s[sgprStrideC1J]                // ROWINC- Move cinRowPtr to next row
_v_add_u32 v3, v3, s[sgprStrideD1J]                // Move coutRowPtr to next row
v_cmp_lt_u32 s[54:55], v0, s[sgprSizeI]            // coord0 < size0
v_cmp_lt_u32 s[58:59], v1, s[sgprSizeJ]            // coord1 < size1
s_and_b64 s[58:59], s[54:55], s[58:59]             // in0 && in1
_v_add_lshl_u32 v34, v3, v0, 0x1                   // scaleToBpe: accumulate d0 lower and *= bpe into Cin addr
v_cndmask_b32 v34, -1, v34, s[58:59]               // LDD clip if OOB. offset
/* (d1,vc1,d0,vc0)=(12,3,1,0) */
s_mov_b32 s54, 128                                 // coordOffset0 d0=1 vc0=0
_v_add_co_u32 v4, vcc, v0, s54                     // coord0.2: coord0 += d0*sg0*VW + vc0
v_cmp_lt_u32 s[54:55], v4, s[sgprSizeI]            // coord0 < size0
v_cmp_lt_u32 s[58:59], v1, s[sgprSizeJ]            // coord1 < size1
s_and_b64 s[58:59], s[54:55], s[58:59]             // in0 && in1
_v_add_lshl_u32 v38, v3, v4, 0x1                   // scaleToBpe: accumulate d0 lower and *= bpe into Cin addr
v_cndmask_b32 v38, -1, v38, s[58:59]               // LDD clip if OOB. offset
/* (d1,vc1,d0,vc0)=(13,0,0,0) */
_v_add_co_u32 v1, vcc, v1, 5                       // coord1.1: coord1Vgpr += d1*sg1*VW + vc1

/* Fix for UseInitialStridesCD, emitAddressSetupCode */
s_mul_i32 s54, s[sgprStrideC1J], 5                 // scale stride
_v_add_u32 v2, v2, s54                             // ROWINC- Move cinRowPtr to next row
s_mul_i32 s54, s[sgprStrideD1J], 5                 // scale stride
_v_add_u32 v3, v3, s54                             // Move coutRowPtr to next row
v_cmp_lt_u32 s[54:55], v0, s[sgprSizeI]            // coord0 < size0
v_cmp_lt_u32 s[58:59], v1, s[sgprSizeJ]            // coord1 < size1
s_and_b64 s[58:59], s[54:55], s[58:59]             // in0 && in1
_v_add_lshl_u32 v42, v3, v0, 0x1                   // scaleToBpe: accumulate d0 lower and *= bpe into Cin addr
v_cndmask_b32 v42, -1, v42, s[58:59]               // LDD clip if OOB. offset
/* (d1,vc1,d0,vc0)=(13,0,1,0) */
s_mov_b32 s54, 128                                 // coordOffset0 d0=1 vc0=0
_v_add_co_u32 v4, vcc, v0, s54                     // coord0.2: coord0 += d0*sg0*VW + vc0
v_cmp_lt_u32 s[54:55], v4, s[sgprSizeI]            // coord0 < size0
v_cmp_lt_u32 s[58:59], v1, s[sgprSizeJ]            // coord1 < size1
s_and_b64 s[58:59], s[54:55], s[58:59]             // in0 && in1
_v_add_lshl_u32 v46, v3, v4, 0x1                   // scaleToBpe: accumulate d0 lower and *= bpe into Cin addr
v_cndmask_b32 v46, -1, v46, s[58:59]               // LDD clip if OOB. offset
/* (d1,vc1,d0,vc0)=(13,1,0,0) */
_v_add_co_u32 v1, vcc, v1, 1                       // coord1.1: coord1Vgpr += d1*sg1*VW + vc1

/* Fix for UseInitialStridesCD, emitAddressSetupCode */
_v_add_u32 v2, v2, s[sgprStrideC1J]                // ROWINC- Move cinRowPtr to next row
_v_add_u32 v3, v3, s[sgprStrideD1J]                // Move coutRowPtr to next row
v_cmp_lt_u32 s[54:55], v0, s[sgprSizeI]            // coord0 < size0
v_cmp_lt_u32 s[58:59], v1, s[sgprSizeJ]            // coord1 < size1
s_and_b64 s[58:59], s[54:55], s[58:59]             // in0 && in1
_v_add_lshl_u32 v50, v3, v0, 0x1                   // scaleToBpe: accumulate d0 lower and *= bpe into Cin addr
v_cndmask_b32 v50, -1, v50, s[58:59]               // LDD clip if OOB. offset
/* (d1,vc1,d0,vc0)=(13,1,1,0) */
s_mov_b32 s54, 128                                 // coordOffset0 d0=1 vc0=0
_v_add_co_u32 v4, vcc, v0, s54                     // coord0.2: coord0 += d0*sg0*VW + vc0
v_cmp_lt_u32 s[54:55], v4, s[sgprSizeI]            // coord0 < size0
v_cmp_lt_u32 s[58:59], v1, s[sgprSizeJ]            // coord1 < size1
s_and_b64 s[58:59], s[54:55], s[58:59]             // in0 && in1
_v_add_lshl_u32 v54, v3, v4, 0x1                   // scaleToBpe: accumulate d0 lower and *= bpe into Cin addr
v_cndmask_b32 v54, -1, v54, s[58:59]               // LDD clip if OOB. offset
/* (d1,vc1,d0,vc0)=(13,2,0,0) */
_v_add_co_u32 v1, vcc, v1, 1                       // coord1.1: coord1Vgpr += d1*sg1*VW + vc1

/* Fix for UseInitialStridesCD, emitAddressSetupCode */
_v_add_u32 v2, v2, s[sgprStrideC1J]                // ROWINC- Move cinRowPtr to next row
_v_add_u32 v3, v3, s[sgprStrideD1J]                // Move coutRowPtr to next row
	;; [unrolled: 19-line block ×3, first 2 shown]
v_cmp_lt_u32 s[54:55], v0, s[sgprSizeI]            // coord0 < size0
v_cmp_lt_u32 s[58:59], v1, s[sgprSizeJ]            // coord1 < size1
s_and_b64 s[58:59], s[54:55], s[58:59]             // in0 && in1
_v_add_lshl_u32 v66, v3, v0, 0x1                   // scaleToBpe: accumulate d0 lower and *= bpe into Cin addr
v_cndmask_b32 v66, -1, v66, s[58:59]               // LDD clip if OOB. offset
/* (d1,vc1,d0,vc0)=(13,3,1,0) */
s_mov_b32 s54, 128                                 // coordOffset0 d0=1 vc0=0
_v_add_co_u32 v4, vcc, v0, s54                     // coord0.2: coord0 += d0*sg0*VW + vc0
v_cmp_lt_u32 s[54:55], v4, s[sgprSizeI]            // coord0 < size0
v_cmp_lt_u32 s[58:59], v1, s[sgprSizeJ]            // coord1 < size1
s_and_b64 s[58:59], s[54:55], s[58:59]             // in0 && in1
_v_add_lshl_u32 v70, v3, v4, 0x1                   // scaleToBpe: accumulate d0 lower and *= bpe into Cin addr
v_cndmask_b32 v70, -1, v70, s[58:59]               // LDD clip if OOB. offset
v_accvgpr_read_b32 v[vgprValuC+12], acc192 // copy acc to vreg[192]
v_accvgpr_read_b32 v[vgprValuC+13], acc208 // copy acc to vreg[193]
v_accvgpr_read_b32 v[vgprValuC+16], acc224 // copy acc to vreg[194]
v_accvgpr_read_b32 v[vgprValuC+17], acc240 // copy acc to vreg[195]
v_accvgpr_read_b32 v[vgprValuC+20], acc193 // copy acc to vreg[196]
v_accvgpr_read_b32 v[vgprValuC+21], acc209 // copy acc to vreg[197]
v_accvgpr_read_b32 v[vgprValuC+24], acc225 // copy acc to vreg[198]
v_accvgpr_read_b32 v[vgprValuC+25], acc241 // copy acc to vreg[199]
v_accvgpr_read_b32 v[vgprValuC+28], acc194 // copy acc to vreg[200]
v_accvgpr_read_b32 v[vgprValuC+29], acc210 // copy acc to vreg[201]
v_accvgpr_read_b32 v[vgprValuC+32], acc226 // copy acc to vreg[202]
v_accvgpr_read_b32 v[vgprValuC+33], acc242 // copy acc to vreg[203]
v_accvgpr_read_b32 v[vgprValuC+36], acc195 // copy acc to vreg[204]
v_accvgpr_read_b32 v[vgprValuC+37], acc211 // copy acc to vreg[205]
v_accvgpr_read_b32 v[vgprValuC+40], acc227 // copy acc to vreg[206]
v_accvgpr_read_b32 v[vgprValuC+41], acc243 // copy acc to vreg[207]
v_accvgpr_read_b32 v[vgprValuC+44], acc196 // copy acc to vreg[208]
v_accvgpr_read_b32 v[vgprValuC+45], acc212 // copy acc to vreg[209]
v_accvgpr_read_b32 v[vgprValuC+48], acc228 // copy acc to vreg[210]
v_accvgpr_read_b32 v[vgprValuC+49], acc244 // copy acc to vreg[211]
v_accvgpr_read_b32 v[vgprValuC+52], acc197 // copy acc to vreg[212]
v_accvgpr_read_b32 v[vgprValuC+53], acc213 // copy acc to vreg[213]
v_accvgpr_read_b32 v[vgprValuC+56], acc229 // copy acc to vreg[214]
v_accvgpr_read_b32 v[vgprValuC+57], acc245 // copy acc to vreg[215]
v_accvgpr_read_b32 v[vgprValuC+60], acc198 // copy acc to vreg[216]
v_accvgpr_read_b32 v[vgprValuC+61], acc214 // copy acc to vreg[217]
v_accvgpr_read_b32 v[vgprValuC+64], acc230 // copy acc to vreg[218]
v_accvgpr_read_b32 v[vgprValuC+65], acc246 // copy acc to vreg[219]
v_accvgpr_read_b32 v[vgprValuC+68], acc199 // copy acc to vreg[220]
v_accvgpr_read_b32 v[vgprValuC+69], acc215 // copy acc to vreg[221]
v_accvgpr_read_b32 v[vgprValuC+72], acc231 // copy acc to vreg[222]
v_accvgpr_read_b32 v[vgprValuC+73], acc247 // copy acc to vreg[223]
s_nop 1                                            // 2 wait states required before reading vgpr

/* rC *= alpha batchElements=[(12, 0, 0, 0), (12, 1, 0, 0), (12, 0, 1, 0), (12, 1, 1, 0), (12, 0, 2, 0), (12, 1, 2, 0), (12, 0, 3, 0), (12, 1, 3, 0), (13, 0, 0, 0), (13, 1, 0, 0), (13, 0, 1, 0), (13, 1, 1, 0), (13, 0, 2, 0), (13, 1, 2, 0), (13, 0, 3, 0), (13, 1, 3, 0)] */
v_mul_f32 v[vgprValuC+12], s[sgprAlpha], v[vgprValuC+12] // *= alpha
v_mul_f32 v[vgprValuC+13], s[sgprAlpha], v[vgprValuC+13] // *= alpha
	;; [unrolled: 1-line block ×32, first 2 shown]

/* apply mask, calc new C and issue writes */
v_mov_b32 v7, 0xffff0000                           // mask for pack two bfloat16 element to 32bit
v_mov_b32 v8, 0x7fff0000                           // fp32 Nan
v_mov_b32 v9, 0x7fff                               // rounding bias for bfloat16
v_cmp_u_f32 s[54:55], v[vgprValuC+12], v[vgprValuC+12] // check Nan
v_bfe_u32 v6, v[vgprValuC+12], 16, 1               // Non-Nan case: store lsb of bf16
v_add3_u32 v6, v[vgprValuC+12], v6, v9             // Non-Nan case: add lsb and the increment for rounding
v_cndmask_b32 v[vgprValuC+12], v6, v8, s[54:55]    // 
v_lshrrev_b32 v[vgprValuC+12], 16, v[vgprValuC+12] // convert C to bf16
v_cmp_u_f32 s[54:55], v[vgprValuC+13], v[vgprValuC+13] // check Nan
v_bfe_u32 v6, v[vgprValuC+13], 16, 1               // Non-Nan case: store lsb of bf16
v_add3_u32 v6, v[vgprValuC+13], v6, v9             // Non-Nan case: add lsb and the increment for rounding
v_cndmask_b32 v[vgprValuC+13], v6, v8, s[54:55]    // 
v_and_or_b32 v12, v[vgprValuC+13], v7, v[vgprValuC+12] // pack two bf16 to dword
v_cmp_u_f32 s[54:55], v[vgprValuC+16], v[vgprValuC+16] // check Nan
v_bfe_u32 v6, v[vgprValuC+16], 16, 1               // Non-Nan case: store lsb of bf16
v_add3_u32 v6, v[vgprValuC+16], v6, v9             // Non-Nan case: add lsb and the increment for rounding
v_cndmask_b32 v[vgprValuC+16], v6, v8, s[54:55]    // 
v_lshrrev_b32 v[vgprValuC+16], 16, v[vgprValuC+16] // convert C to bf16
v_cmp_u_f32 s[54:55], v[vgprValuC+17], v[vgprValuC+17] // check Nan
v_bfe_u32 v6, v[vgprValuC+17], 16, 1               // Non-Nan case: store lsb of bf16
v_add3_u32 v6, v[vgprValuC+17], v6, v9             // Non-Nan case: add lsb and the increment for rounding
v_cndmask_b32 v[vgprValuC+17], v6, v8, s[54:55]    // 
v_and_or_b32 v16, v[vgprValuC+17], v7, v[vgprValuC+16] // pack two bf16 to dword
	;; [unrolled: 10-line block ×16, first 2 shown]
_buffer_store_b32 v12, v10, s[sgprSrdD:sgprSrdD+3], 0, offen, offset:0 // store D
_buffer_store_b32 v16, v14, s[sgprSrdD:sgprSrdD+3], 0, offen, offset:0 // store D
	;; [unrolled: 1-line block ×16, first 2 shown]
s_nop 0                                            // 1 wait state required when next inst writes vgprs held by previous dwordx4 store inst
/* optSingleColVgpr=0 optSharedColVgpr=0 optSGPRUsage=BufferLoad_Edge_Mask optSrdIncForRow=0 */
s_sleep 3 // optimization: sync and wait
s_barrier

/******************************************/
/* Global Write Alpha Edge Batch #7 (d1,d0,vc1,vc0) = */
/*    (14,0,0,0:vw2); (14,1,0,0:vw2); (14,0,1,0:vw2); (14,1,1,0:vw2); (14,0,2,0:vw2); (14,1,2,0:vw2); (14,0,3,0:vw2); (14,1,3,0:vw2); (15,0,0,0:vw2); (15,1,0,0:vw2); (15,0,1,0:vw2); (15,1,1,0:vw2); (15,0,2,0:vw2); (15,1,2,0:vw2); (15,0,3,0:vw2); (15,1,3,0:vw2) */
/******************************************/

/* calc coords, apply mask, and issue loads (if necessary) */
/* (d1,vc1,d0,vc0)=(14,0,0,0) */
_v_add_co_u32 v1, vcc, v1, 5                       // coord1.1: coord1Vgpr += d1*sg1*VW + vc1

/* Fix for UseInitialStridesCD, emitAddressSetupCode */
s_mul_i32 s54, s[sgprStrideC1J], 5                 // scale stride
_v_add_u32 v2, v2, s54                             // ROWINC- Move cinRowPtr to next row
s_mul_i32 s54, s[sgprStrideD1J], 5                 // scale stride
_v_add_u32 v3, v3, s54                             // Move coutRowPtr to next row
v_cmp_lt_u32 s[54:55], v0, s[sgprSizeI]            // coord0 < size0
v_cmp_lt_u32 s[58:59], v1, s[sgprSizeJ]            // coord1 < size1
s_and_b64 s[58:59], s[54:55], s[58:59]             // in0 && in1
_v_add_lshl_u32 v10, v3, v0, 0x1                   // scaleToBpe: accumulate d0 lower and *= bpe into Cin addr
v_cndmask_b32 v10, -1, v10, s[58:59]               // LDD clip if OOB. offset
/* (d1,vc1,d0,vc0)=(14,0,1,0) */
s_mov_b32 s54, 128                                 // coordOffset0 d0=1 vc0=0
_v_add_co_u32 v4, vcc, v0, s54                     // coord0.2: coord0 += d0*sg0*VW + vc0
v_cmp_lt_u32 s[54:55], v4, s[sgprSizeI]            // coord0 < size0
v_cmp_lt_u32 s[58:59], v1, s[sgprSizeJ]            // coord1 < size1
s_and_b64 s[58:59], s[54:55], s[58:59]             // in0 && in1
_v_add_lshl_u32 v14, v3, v4, 0x1                   // scaleToBpe: accumulate d0 lower and *= bpe into Cin addr
v_cndmask_b32 v14, -1, v14, s[58:59]               // LDD clip if OOB. offset
/* (d1,vc1,d0,vc0)=(14,1,0,0) */
_v_add_co_u32 v1, vcc, v1, 1                       // coord1.1: coord1Vgpr += d1*sg1*VW + vc1

/* Fix for UseInitialStridesCD, emitAddressSetupCode */
_v_add_u32 v2, v2, s[sgprStrideC1J]                // ROWINC- Move cinRowPtr to next row
_v_add_u32 v3, v3, s[sgprStrideD1J]                // Move coutRowPtr to next row
v_cmp_lt_u32 s[54:55], v0, s[sgprSizeI]            // coord0 < size0
v_cmp_lt_u32 s[58:59], v1, s[sgprSizeJ]            // coord1 < size1
s_and_b64 s[58:59], s[54:55], s[58:59]             // in0 && in1
_v_add_lshl_u32 v18, v3, v0, 0x1                   // scaleToBpe: accumulate d0 lower and *= bpe into Cin addr
v_cndmask_b32 v18, -1, v18, s[58:59]               // LDD clip if OOB. offset
/* (d1,vc1,d0,vc0)=(14,1,1,0) */
s_mov_b32 s54, 128                                 // coordOffset0 d0=1 vc0=0
_v_add_co_u32 v4, vcc, v0, s54                     // coord0.2: coord0 += d0*sg0*VW + vc0
v_cmp_lt_u32 s[54:55], v4, s[sgprSizeI]            // coord0 < size0
v_cmp_lt_u32 s[58:59], v1, s[sgprSizeJ]            // coord1 < size1
s_and_b64 s[58:59], s[54:55], s[58:59]             // in0 && in1
_v_add_lshl_u32 v22, v3, v4, 0x1                   // scaleToBpe: accumulate d0 lower and *= bpe into Cin addr
v_cndmask_b32 v22, -1, v22, s[58:59]               // LDD clip if OOB. offset
/* (d1,vc1,d0,vc0)=(14,2,0,0) */
_v_add_co_u32 v1, vcc, v1, 1                       // coord1.1: coord1Vgpr += d1*sg1*VW + vc1

/* Fix for UseInitialStridesCD, emitAddressSetupCode */
_v_add_u32 v2, v2, s[sgprStrideC1J]                // ROWINC- Move cinRowPtr to next row
_v_add_u32 v3, v3, s[sgprStrideD1J]                // Move coutRowPtr to next row
	;; [unrolled: 19-line block ×3, first 2 shown]
v_cmp_lt_u32 s[54:55], v0, s[sgprSizeI]            // coord0 < size0
v_cmp_lt_u32 s[58:59], v1, s[sgprSizeJ]            // coord1 < size1
s_and_b64 s[58:59], s[54:55], s[58:59]             // in0 && in1
_v_add_lshl_u32 v34, v3, v0, 0x1                   // scaleToBpe: accumulate d0 lower and *= bpe into Cin addr
v_cndmask_b32 v34, -1, v34, s[58:59]               // LDD clip if OOB. offset
/* (d1,vc1,d0,vc0)=(14,3,1,0) */
s_mov_b32 s54, 128                                 // coordOffset0 d0=1 vc0=0
_v_add_co_u32 v4, vcc, v0, s54                     // coord0.2: coord0 += d0*sg0*VW + vc0
v_cmp_lt_u32 s[54:55], v4, s[sgprSizeI]            // coord0 < size0
v_cmp_lt_u32 s[58:59], v1, s[sgprSizeJ]            // coord1 < size1
s_and_b64 s[58:59], s[54:55], s[58:59]             // in0 && in1
_v_add_lshl_u32 v38, v3, v4, 0x1                   // scaleToBpe: accumulate d0 lower and *= bpe into Cin addr
v_cndmask_b32 v38, -1, v38, s[58:59]               // LDD clip if OOB. offset
/* (d1,vc1,d0,vc0)=(15,0,0,0) */
_v_add_co_u32 v1, vcc, v1, 5                       // coord1.1: coord1Vgpr += d1*sg1*VW + vc1

/* Fix for UseInitialStridesCD, emitAddressSetupCode */
s_mul_i32 s54, s[sgprStrideC1J], 5                 // scale stride
_v_add_u32 v2, v2, s54                             // ROWINC- Move cinRowPtr to next row
s_mul_i32 s54, s[sgprStrideD1J], 5                 // scale stride
_v_add_u32 v3, v3, s54                             // Move coutRowPtr to next row
v_cmp_lt_u32 s[54:55], v0, s[sgprSizeI]            // coord0 < size0
v_cmp_lt_u32 s[58:59], v1, s[sgprSizeJ]            // coord1 < size1
s_and_b64 s[58:59], s[54:55], s[58:59]             // in0 && in1
_v_add_lshl_u32 v42, v3, v0, 0x1                   // scaleToBpe: accumulate d0 lower and *= bpe into Cin addr
v_cndmask_b32 v42, -1, v42, s[58:59]               // LDD clip if OOB. offset
/* (d1,vc1,d0,vc0)=(15,0,1,0) */
s_mov_b32 s54, 128                                 // coordOffset0 d0=1 vc0=0
_v_add_co_u32 v4, vcc, v0, s54                     // coord0.2: coord0 += d0*sg0*VW + vc0
v_cmp_lt_u32 s[54:55], v4, s[sgprSizeI]            // coord0 < size0
v_cmp_lt_u32 s[58:59], v1, s[sgprSizeJ]            // coord1 < size1
s_and_b64 s[58:59], s[54:55], s[58:59]             // in0 && in1
_v_add_lshl_u32 v46, v3, v4, 0x1                   // scaleToBpe: accumulate d0 lower and *= bpe into Cin addr
v_cndmask_b32 v46, -1, v46, s[58:59]               // LDD clip if OOB. offset
/* (d1,vc1,d0,vc0)=(15,1,0,0) */
_v_add_co_u32 v1, vcc, v1, 1                       // coord1.1: coord1Vgpr += d1*sg1*VW + vc1

/* Fix for UseInitialStridesCD, emitAddressSetupCode */
_v_add_u32 v2, v2, s[sgprStrideC1J]                // ROWINC- Move cinRowPtr to next row
_v_add_u32 v3, v3, s[sgprStrideD1J]                // Move coutRowPtr to next row
v_cmp_lt_u32 s[54:55], v0, s[sgprSizeI]            // coord0 < size0
v_cmp_lt_u32 s[58:59], v1, s[sgprSizeJ]            // coord1 < size1
s_and_b64 s[58:59], s[54:55], s[58:59]             // in0 && in1
_v_add_lshl_u32 v50, v3, v0, 0x1                   // scaleToBpe: accumulate d0 lower and *= bpe into Cin addr
v_cndmask_b32 v50, -1, v50, s[58:59]               // LDD clip if OOB. offset
/* (d1,vc1,d0,vc0)=(15,1,1,0) */
s_mov_b32 s54, 128                                 // coordOffset0 d0=1 vc0=0
_v_add_co_u32 v4, vcc, v0, s54                     // coord0.2: coord0 += d0*sg0*VW + vc0
v_cmp_lt_u32 s[54:55], v4, s[sgprSizeI]            // coord0 < size0
v_cmp_lt_u32 s[58:59], v1, s[sgprSizeJ]            // coord1 < size1
s_and_b64 s[58:59], s[54:55], s[58:59]             // in0 && in1
_v_add_lshl_u32 v54, v3, v4, 0x1                   // scaleToBpe: accumulate d0 lower and *= bpe into Cin addr
v_cndmask_b32 v54, -1, v54, s[58:59]               // LDD clip if OOB. offset
/* (d1,vc1,d0,vc0)=(15,2,0,0) */
_v_add_co_u32 v1, vcc, v1, 1                       // coord1.1: coord1Vgpr += d1*sg1*VW + vc1

/* Fix for UseInitialStridesCD, emitAddressSetupCode */
_v_add_u32 v2, v2, s[sgprStrideC1J]                // ROWINC- Move cinRowPtr to next row
_v_add_u32 v3, v3, s[sgprStrideD1J]                // Move coutRowPtr to next row
	;; [unrolled: 19-line block ×3, first 2 shown]
v_cmp_lt_u32 s[54:55], v0, s[sgprSizeI]            // coord0 < size0
v_cmp_lt_u32 s[58:59], v1, s[sgprSizeJ]            // coord1 < size1
s_and_b64 s[58:59], s[54:55], s[58:59]             // in0 && in1
_v_add_lshl_u32 v66, v3, v0, 0x1                   // scaleToBpe: accumulate d0 lower and *= bpe into Cin addr
v_cndmask_b32 v66, -1, v66, s[58:59]               // LDD clip if OOB. offset
/* (d1,vc1,d0,vc0)=(15,3,1,0) */
s_mov_b32 s54, 128                                 // coordOffset0 d0=1 vc0=0
_v_add_co_u32 v4, vcc, v0, s54                     // coord0.2: coord0 += d0*sg0*VW + vc0
v_cmp_lt_u32 s[54:55], v4, s[sgprSizeI]            // coord0 < size0
v_cmp_lt_u32 s[58:59], v1, s[sgprSizeJ]            // coord1 < size1
s_and_b64 s[58:59], s[54:55], s[58:59]             // in0 && in1
_v_add_lshl_u32 v70, v3, v4, 0x1                   // scaleToBpe: accumulate d0 lower and *= bpe into Cin addr
v_cndmask_b32 v70, -1, v70, s[58:59]               // LDD clip if OOB. offset
v_accvgpr_read_b32 v[vgprValuC+12], acc200 // copy acc to vreg[224]
v_accvgpr_read_b32 v[vgprValuC+13], acc216 // copy acc to vreg[225]
v_accvgpr_read_b32 v[vgprValuC+16], acc232 // copy acc to vreg[226]
v_accvgpr_read_b32 v[vgprValuC+17], acc248 // copy acc to vreg[227]
v_accvgpr_read_b32 v[vgprValuC+20], acc201 // copy acc to vreg[228]
v_accvgpr_read_b32 v[vgprValuC+21], acc217 // copy acc to vreg[229]
v_accvgpr_read_b32 v[vgprValuC+24], acc233 // copy acc to vreg[230]
v_accvgpr_read_b32 v[vgprValuC+25], acc249 // copy acc to vreg[231]
v_accvgpr_read_b32 v[vgprValuC+28], acc202 // copy acc to vreg[232]
v_accvgpr_read_b32 v[vgprValuC+29], acc218 // copy acc to vreg[233]
v_accvgpr_read_b32 v[vgprValuC+32], acc234 // copy acc to vreg[234]
v_accvgpr_read_b32 v[vgprValuC+33], acc250 // copy acc to vreg[235]
v_accvgpr_read_b32 v[vgprValuC+36], acc203 // copy acc to vreg[236]
v_accvgpr_read_b32 v[vgprValuC+37], acc219 // copy acc to vreg[237]
v_accvgpr_read_b32 v[vgprValuC+40], acc235 // copy acc to vreg[238]
v_accvgpr_read_b32 v[vgprValuC+41], acc251 // copy acc to vreg[239]
v_accvgpr_read_b32 v[vgprValuC+44], acc204 // copy acc to vreg[240]
v_accvgpr_read_b32 v[vgprValuC+45], acc220 // copy acc to vreg[241]
v_accvgpr_read_b32 v[vgprValuC+48], acc236 // copy acc to vreg[242]
v_accvgpr_read_b32 v[vgprValuC+49], acc252 // copy acc to vreg[243]
v_accvgpr_read_b32 v[vgprValuC+52], acc205 // copy acc to vreg[244]
v_accvgpr_read_b32 v[vgprValuC+53], acc221 // copy acc to vreg[245]
v_accvgpr_read_b32 v[vgprValuC+56], acc237 // copy acc to vreg[246]
v_accvgpr_read_b32 v[vgprValuC+57], acc253 // copy acc to vreg[247]
v_accvgpr_read_b32 v[vgprValuC+60], acc206 // copy acc to vreg[248]
v_accvgpr_read_b32 v[vgprValuC+61], acc222 // copy acc to vreg[249]
v_accvgpr_read_b32 v[vgprValuC+64], acc238 // copy acc to vreg[250]
v_accvgpr_read_b32 v[vgprValuC+65], acc254 // copy acc to vreg[251]
v_accvgpr_read_b32 v[vgprValuC+68], acc207 // copy acc to vreg[252]
v_accvgpr_read_b32 v[vgprValuC+69], acc223 // copy acc to vreg[253]
v_accvgpr_read_b32 v[vgprValuC+72], acc239 // copy acc to vreg[254]
v_accvgpr_read_b32 v[vgprValuC+73], acc255 // copy acc to vreg[255]
s_nop 1                                            // 2 wait states required before reading vgpr

/* rC *= alpha batchElements=[(14, 0, 0, 0), (14, 1, 0, 0), (14, 0, 1, 0), (14, 1, 1, 0), (14, 0, 2, 0), (14, 1, 2, 0), (14, 0, 3, 0), (14, 1, 3, 0), (15, 0, 0, 0), (15, 1, 0, 0), (15, 0, 1, 0), (15, 1, 1, 0), (15, 0, 2, 0), (15, 1, 2, 0), (15, 0, 3, 0), (15, 1, 3, 0)] */
v_mul_f32 v[vgprValuC+12], s[sgprAlpha], v[vgprValuC+12] // *= alpha
v_mul_f32 v[vgprValuC+13], s[sgprAlpha], v[vgprValuC+13] // *= alpha
	;; [unrolled: 1-line block ×32, first 2 shown]

/* apply mask, calc new C and issue writes */
v_mov_b32 v7, 0xffff0000                           // mask for pack two bfloat16 element to 32bit
v_mov_b32 v8, 0x7fff0000                           // fp32 Nan
v_mov_b32 v9, 0x7fff                               // rounding bias for bfloat16
v_cmp_u_f32 s[54:55], v[vgprValuC+12], v[vgprValuC+12] // check Nan
v_bfe_u32 v6, v[vgprValuC+12], 16, 1               // Non-Nan case: store lsb of bf16
v_add3_u32 v6, v[vgprValuC+12], v6, v9             // Non-Nan case: add lsb and the increment for rounding
v_cndmask_b32 v[vgprValuC+12], v6, v8, s[54:55]    // 
v_lshrrev_b32 v[vgprValuC+12], 16, v[vgprValuC+12] // convert C to bf16
v_cmp_u_f32 s[54:55], v[vgprValuC+13], v[vgprValuC+13] // check Nan
v_bfe_u32 v6, v[vgprValuC+13], 16, 1               // Non-Nan case: store lsb of bf16
v_add3_u32 v6, v[vgprValuC+13], v6, v9             // Non-Nan case: add lsb and the increment for rounding
v_cndmask_b32 v[vgprValuC+13], v6, v8, s[54:55]    // 
v_and_or_b32 v12, v[vgprValuC+13], v7, v[vgprValuC+12] // pack two bf16 to dword
v_cmp_u_f32 s[54:55], v[vgprValuC+16], v[vgprValuC+16] // check Nan
v_bfe_u32 v6, v[vgprValuC+16], 16, 1               // Non-Nan case: store lsb of bf16
v_add3_u32 v6, v[vgprValuC+16], v6, v9             // Non-Nan case: add lsb and the increment for rounding
v_cndmask_b32 v[vgprValuC+16], v6, v8, s[54:55]    // 
v_lshrrev_b32 v[vgprValuC+16], 16, v[vgprValuC+16] // convert C to bf16
v_cmp_u_f32 s[54:55], v[vgprValuC+17], v[vgprValuC+17] // check Nan
v_bfe_u32 v6, v[vgprValuC+17], 16, 1               // Non-Nan case: store lsb of bf16
v_add3_u32 v6, v[vgprValuC+17], v6, v9             // Non-Nan case: add lsb and the increment for rounding
v_cndmask_b32 v[vgprValuC+17], v6, v8, s[54:55]    // 
v_and_or_b32 v16, v[vgprValuC+17], v7, v[vgprValuC+16] // pack two bf16 to dword
	;; [unrolled: 10-line block ×16, first 2 shown]
_buffer_store_b32 v12, v10, s[sgprSrdD:sgprSrdD+3], 0, offen, offset:0 // store D
_buffer_store_b32 v16, v14, s[sgprSrdD:sgprSrdD+3], 0, offen, offset:0 // store D
	;; [unrolled: 1-line block ×16, first 2 shown]
s_nop 0                                            // 1 wait state required when next inst writes vgprs held by previous dwordx4 store inst
s_branch label_GW_End_44                           // jump to end
GW_Beta_45:
s_and_b32 s54, 255, s[sgprSizeI]                   // s54 = s[sgprSizeI] % 256
s_add_u32 s55, -0x1, s[sgprNumWorkGroups0]         // 
s_cmp_ge_u32 s[sgprWorkGroup0], s55                // wg0 >= nwg0-1 ?
s_cselect_b32 s54, s54, 0                          // set rMT0
s_cmpk_gt_u32 s54, 0x0                             // rMT0 > 0
s_cbranch_scc1 GW_B1_E1_43                         // jump if edges required
s_and_b32 s54, 255, s[sgprSizeJ]                   // s54 = s[sgprSizeJ] % 256
s_add_u32 s55, -0x1, s[sgprNumWorkGroups1]         // 
s_cmp_ge_u32 s[sgprWorkGroup1], s55                // wg1 >= nwg1-1
s_cselect_b32 s54, s54, 0                          // set rMT1
s_cmpk_gt_u32 s54, 0x0                             // rMT1 > 0
s_cbranch_scc1 GW_B1_E1_43                         // jump if edges required
GW_B1_E0_40:

/* edge=0, allocate 2 sgpr. perBatchTmpS=2 perBatchMaskS=0 perElementMaskS=0 elementsPerBatch=16 */
/* optSingleColVgpr=1 optSharedColVgpr=0 optSGPRUsage=BufferLoad_Mask optSrdIncForRow=1 */
s_sleep 3 // optimization: sync and wait
s_barrier

/******************************************/
/* Global Write Alpha Beta Batch #0 (d1,d0,vc1,vc0) = */
/*    (0,0,0,0:vw2); (0,1,0,0:vw2); (0,0,1,0:vw2); (0,1,1,0:vw2); (0,0,2,0:vw2); (0,1,2,0:vw2); (0,0,3,0:vw2); (0,1,3,0:vw2); (1,0,0,0:vw2); (1,1,0,0:vw2); (1,0,1,0:vw2); (1,1,1,0:vw2); (1,0,2,0:vw2); (1,1,2,0:vw2); (1,0,3,0:vw2); (1,1,3,0:vw2) */
/******************************************/

/* calc coords, apply mask, and issue loads (if necessary) */
/* (d1,vc1,d0,vc0)=(0,0,0,0) */
_v_add_lshl_u32 v11, v2, v0, 0x1                   // optSingleColVgpr scaleToBpe: sharedAddrVgpr <- cinRowPtr + coord0, scaled by BPE. BSHERE:coord0=0, coord0Vgpr=0
/* (d1,vc1,d0,vc0)=(0,0,1,0) */
/* (d1,vc1,d0,vc0)=(0,1,0,0) */
	;; [unrolled: 1-line block ×15, first 2 shown]
_v_add_lshl_u32 v10, v3, v0, 0x1                   // optSingleColVgpr scaleToBpe: sharedAddrVgpr <- cinRowPtr + coord0, scaled by BPE. BSHERE:coord0=0, coord0Vgpr=0
_buffer_load_b32 v12, v11, s[sgprSrdC:sgprSrdC+3], 0, offen offset:0 // load C for beta calc
_buffer_load_b32 v13, v11, s[sgprSrdC:sgprSrdC+3], 0, offen offset:256 // load C for beta calc
s_lshl_b32  s54, s[sgprStrideC1J], 1               // incToNextRow: Scale by BPE
s_add_u32  s[sgprSrdC+0], s[sgprSrdC+0], s54       // incToNextRow: gra SRD += inc(lower)
s_addc_u32  s[sgprSrdC+1], s[sgprSrdC+1], 0        // incToNextRow: gra SRD += inc(upper)
_buffer_load_b32 v18, v11, s[sgprSrdC:sgprSrdC+3], 0, offen offset:0 // load C for beta calc
_buffer_load_b32 v19, v11, s[sgprSrdC:sgprSrdC+3], 0, offen offset:256 // load C for beta calc
s_lshl_b32  s54, s[sgprStrideC1J], 1               // incToNextRow: Scale by BPE
s_add_u32  s[sgprSrdC+0], s[sgprSrdC+0], s54       // incToNextRow: gra SRD += inc(lower)
s_addc_u32  s[sgprSrdC+1], s[sgprSrdC+1], 0        // incToNextRow: gra SRD += inc(upper)
	;; [unrolled: 5-line block ×3, first 2 shown]
_buffer_load_b32 v30, v11, s[sgprSrdC:sgprSrdC+3], 0, offen offset:0 // load C for beta calc
_buffer_load_b32 v31, v11, s[sgprSrdC:sgprSrdC+3], 0, offen offset:256 // load C for beta calc
s_mul_i32 s54, s[sgprStrideC1J], 10                // scale StrideC *= numRows(5) * bpe
s_add_u32  s[sgprSrdC+0], s[sgprSrdC+0], s54       // incToNextRow: gra SRD += inc(lower)
s_addc_u32  s[sgprSrdC+1], s[sgprSrdC+1], 0        // incToNextRow: gra SRD += inc(upper)
_buffer_load_b32 v36, v11, s[sgprSrdC:sgprSrdC+3], 0, offen offset:0 // load C for beta calc
_buffer_load_b32 v37, v11, s[sgprSrdC:sgprSrdC+3], 0, offen offset:256 // load C for beta calc
s_lshl_b32  s54, s[sgprStrideC1J], 1               // incToNextRow: Scale by BPE
s_add_u32  s[sgprSrdC+0], s[sgprSrdC+0], s54       // incToNextRow: gra SRD += inc(lower)
s_addc_u32  s[sgprSrdC+1], s[sgprSrdC+1], 0        // incToNextRow: gra SRD += inc(upper)
_buffer_load_b32 v42, v11, s[sgprSrdC:sgprSrdC+3], 0, offen offset:0 // load C for beta calc
_buffer_load_b32 v43, v11, s[sgprSrdC:sgprSrdC+3], 0, offen offset:256 // load C for beta calc
s_lshl_b32  s54, s[sgprStrideC1J], 1               // incToNextRow: Scale by BPE
	;; [unrolled: 5-line block ×3, first 2 shown]
s_add_u32  s[sgprSrdC+0], s[sgprSrdC+0], s54       // incToNextRow: gra SRD += inc(lower)
s_addc_u32  s[sgprSrdC+1], s[sgprSrdC+1], 0        // incToNextRow: gra SRD += inc(upper)
_buffer_load_b32 v54, v11, s[sgprSrdC:sgprSrdC+3], 0, offen offset:0 // load C for beta calc
_buffer_load_b32 v55, v11, s[sgprSrdC:sgprSrdC+3], 0, offen offset:256 // load C for beta calc
s_sleep 3 // optimization: sync and wait
s_barrier
v_accvgpr_read_b32 v[vgprValuC+14], acc0 // copy acc to vreg[0]
v_accvgpr_read_b32 v[vgprValuC+15], acc16 // copy acc to vreg[1]
v_accvgpr_read_b32 v[vgprValuC+16], acc32 // copy acc to vreg[2]
v_accvgpr_read_b32 v[vgprValuC+17], acc48 // copy acc to vreg[3]
v_accvgpr_read_b32 v[vgprValuC+20], acc1 // copy acc to vreg[4]
v_accvgpr_read_b32 v[vgprValuC+21], acc17 // copy acc to vreg[5]
v_accvgpr_read_b32 v[vgprValuC+22], acc33 // copy acc to vreg[6]
v_accvgpr_read_b32 v[vgprValuC+23], acc49 // copy acc to vreg[7]
v_accvgpr_read_b32 v[vgprValuC+26], acc2 // copy acc to vreg[8]
v_accvgpr_read_b32 v[vgprValuC+27], acc18 // copy acc to vreg[9]
v_accvgpr_read_b32 v[vgprValuC+28], acc34 // copy acc to vreg[10]
v_accvgpr_read_b32 v[vgprValuC+29], acc50 // copy acc to vreg[11]
v_accvgpr_read_b32 v[vgprValuC+32], acc3 // copy acc to vreg[12]
v_accvgpr_read_b32 v[vgprValuC+33], acc19 // copy acc to vreg[13]
v_accvgpr_read_b32 v[vgprValuC+34], acc35 // copy acc to vreg[14]
v_accvgpr_read_b32 v[vgprValuC+35], acc51 // copy acc to vreg[15]
v_accvgpr_read_b32 v[vgprValuC+38], acc4 // copy acc to vreg[16]
v_accvgpr_read_b32 v[vgprValuC+39], acc20 // copy acc to vreg[17]
v_accvgpr_read_b32 v[vgprValuC+40], acc36 // copy acc to vreg[18]
v_accvgpr_read_b32 v[vgprValuC+41], acc52 // copy acc to vreg[19]
v_accvgpr_read_b32 v[vgprValuC+44], acc5 // copy acc to vreg[20]
v_accvgpr_read_b32 v[vgprValuC+45], acc21 // copy acc to vreg[21]
v_accvgpr_read_b32 v[vgprValuC+46], acc37 // copy acc to vreg[22]
v_accvgpr_read_b32 v[vgprValuC+47], acc53 // copy acc to vreg[23]
v_accvgpr_read_b32 v[vgprValuC+50], acc6 // copy acc to vreg[24]
v_accvgpr_read_b32 v[vgprValuC+51], acc22 // copy acc to vreg[25]
v_accvgpr_read_b32 v[vgprValuC+52], acc38 // copy acc to vreg[26]
v_accvgpr_read_b32 v[vgprValuC+53], acc54 // copy acc to vreg[27]
v_accvgpr_read_b32 v[vgprValuC+56], acc7 // copy acc to vreg[28]
v_accvgpr_read_b32 v[vgprValuC+57], acc23 // copy acc to vreg[29]
v_accvgpr_read_b32 v[vgprValuC+58], acc39 // copy acc to vreg[30]
v_accvgpr_read_b32 v[vgprValuC+59], acc55 // copy acc to vreg[31]
s_nop 1                                            // 2 wait states required before reading vgpr

/* rC *= alpha batchElements=[(0, 0, 0, 0), (0, 1, 0, 0), (0, 0, 1, 0), (0, 1, 1, 0), (0, 0, 2, 0), (0, 1, 2, 0), (0, 0, 3, 0), (0, 1, 3, 0), (1, 0, 0, 0), (1, 1, 0, 0), (1, 0, 1, 0), (1, 1, 1, 0), (1, 0, 2, 0), (1, 1, 2, 0), (1, 0, 3, 0), (1, 1, 3, 0)] */
v_mul_f32 v[vgprValuC+14], s[sgprAlpha], v[vgprValuC+14] // *= alpha
v_mul_f32 v[vgprValuC+15], s[sgprAlpha], v[vgprValuC+15] // *= alpha
	;; [unrolled: 1-line block ×32, first 2 shown]
s_waitcnt vmcnt(0)                                 // wait C

/* apply mask, calc new C and issue writes */
v_mov_b32 v7, 0xffff0000                           // mask for pack two bfloat16 element to 32bit
v_mov_b32 v8, 0x7fff0000                           // fp32 Nan
v_mov_b32 v9, 0x7fff                               // rounding bias for bfloat16
v_lshlrev_b32 v4, 16, v12                          // convert bf16 to fp32
_v_mac_f32 v[vgprValuC+14], v4, s[sgprBeta]        // finalSum = sum*alpha + C*beta
v_and_b32 v4, v12, v7                              // convert bf16 to fp32
_v_mac_f32 v[vgprValuC+15], v4, s[sgprBeta]        // finalSum = sum*alpha + C*beta
v_cmp_u_f32 s[54:55], v[vgprValuC+14], v[vgprValuC+14] // check Nan
v_bfe_u32 v6, v[vgprValuC+14], 16, 1               // Non-Nan case: store lsb of bf16
v_add3_u32 v6, v[vgprValuC+14], v6, v9             // Non-Nan case: add lsb and the increment for rounding
v_cndmask_b32 v[vgprValuC+14], v6, v8, s[54:55]    // 
v_lshrrev_b32 v[vgprValuC+14], 16, v[vgprValuC+14] // convert C to bf16
v_cmp_u_f32 s[54:55], v[vgprValuC+15], v[vgprValuC+15] // check Nan
v_bfe_u32 v6, v[vgprValuC+15], 16, 1               // Non-Nan case: store lsb of bf16
v_add3_u32 v6, v[vgprValuC+15], v6, v9             // Non-Nan case: add lsb and the increment for rounding
v_cndmask_b32 v[vgprValuC+15], v6, v8, s[54:55]    // 
v_and_or_b32 v14, v[vgprValuC+15], v7, v[vgprValuC+14] // pack two bf16 to dword
v_lshlrev_b32 v4, 16, v13                          // convert bf16 to fp32
_v_mac_f32 v[vgprValuC+16], v4, s[sgprBeta]        // finalSum = sum*alpha + C*beta
v_and_b32 v4, v13, v7                              // convert bf16 to fp32
_v_mac_f32 v[vgprValuC+17], v4, s[sgprBeta]        // finalSum = sum*alpha + C*beta
v_cmp_u_f32 s[54:55], v[vgprValuC+16], v[vgprValuC+16] // check Nan
v_bfe_u32 v6, v[vgprValuC+16], 16, 1               // Non-Nan case: store lsb of bf16
v_add3_u32 v6, v[vgprValuC+16], v6, v9             // Non-Nan case: add lsb and the increment for rounding
v_cndmask_b32 v[vgprValuC+16], v6, v8, s[54:55]    // 
v_lshrrev_b32 v[vgprValuC+16], 16, v[vgprValuC+16] // convert C to bf16
v_cmp_u_f32 s[54:55], v[vgprValuC+17], v[vgprValuC+17] // check Nan
v_bfe_u32 v6, v[vgprValuC+17], 16, 1               // Non-Nan case: store lsb of bf16
v_add3_u32 v6, v[vgprValuC+17], v6, v9             // Non-Nan case: add lsb and the increment for rounding
v_cndmask_b32 v[vgprValuC+17], v6, v8, s[54:55]    // 
v_and_or_b32 v16, v[vgprValuC+17], v7, v[vgprValuC+16] // pack two bf16 to dword
	;; [unrolled: 14-line block ×16, first 2 shown]
_buffer_store_b32 v14, v10, s[sgprSrdD:sgprSrdD+3], 0, offen, offset:0 // store D
_buffer_store_b32 v16, v10, s[sgprSrdD:sgprSrdD+3], 0, offen, offset:256 // store D
s_lshl_b32  s54, s[sgprStrideD1J], 1               // incToNextRow: Scale by BPE
s_add_u32  s[sgprSrdD+0], s[sgprSrdD+0], s54       // incToNextRow: gra SRD += inc(lower)
s_addc_u32  s[sgprSrdD+1], s[sgprSrdD+1], 0        // incToNextRow: gra SRD += inc(upper)
_buffer_store_b32 v20, v10, s[sgprSrdD:sgprSrdD+3], 0, offen, offset:0 // store D
_buffer_store_b32 v22, v10, s[sgprSrdD:sgprSrdD+3], 0, offen, offset:256 // store D
s_lshl_b32  s54, s[sgprStrideD1J], 1               // incToNextRow: Scale by BPE
s_add_u32  s[sgprSrdD+0], s[sgprSrdD+0], s54       // incToNextRow: gra SRD += inc(lower)
s_addc_u32  s[sgprSrdD+1], s[sgprSrdD+1], 0        // incToNextRow: gra SRD += inc(upper)
	;; [unrolled: 5-line block ×3, first 2 shown]
_buffer_store_b32 v32, v10, s[sgprSrdD:sgprSrdD+3], 0, offen, offset:0 // store D
_buffer_store_b32 v34, v10, s[sgprSrdD:sgprSrdD+3], 0, offen, offset:256 // store D
s_mul_i32 s54, s[sgprStrideD1J], 10                // scale StrideD *= numRows(5) * bpe
s_add_u32  s[sgprSrdD+0], s[sgprSrdD+0], s54       // incToNextRow: gra SRD += inc(lower)
s_addc_u32  s[sgprSrdD+1], s[sgprSrdD+1], 0        // incToNextRow: gra SRD += inc(upper)
_buffer_store_b32 v38, v10, s[sgprSrdD:sgprSrdD+3], 0, offen, offset:0 // store D
_buffer_store_b32 v40, v10, s[sgprSrdD:sgprSrdD+3], 0, offen, offset:256 // store D
s_lshl_b32  s54, s[sgprStrideD1J], 1               // incToNextRow: Scale by BPE
s_add_u32  s[sgprSrdD+0], s[sgprSrdD+0], s54       // incToNextRow: gra SRD += inc(lower)
s_addc_u32  s[sgprSrdD+1], s[sgprSrdD+1], 0        // incToNextRow: gra SRD += inc(upper)
_buffer_store_b32 v44, v10, s[sgprSrdD:sgprSrdD+3], 0, offen, offset:0 // store D
_buffer_store_b32 v46, v10, s[sgprSrdD:sgprSrdD+3], 0, offen, offset:256 // store D
s_lshl_b32  s54, s[sgprStrideD1J], 1               // incToNextRow: Scale by BPE
	;; [unrolled: 5-line block ×3, first 2 shown]
s_add_u32  s[sgprSrdD+0], s[sgprSrdD+0], s54       // incToNextRow: gra SRD += inc(lower)
s_addc_u32  s[sgprSrdD+1], s[sgprSrdD+1], 0        // incToNextRow: gra SRD += inc(upper)
_buffer_store_b32 v56, v10, s[sgprSrdD:sgprSrdD+3], 0, offen, offset:0 // store D
_buffer_store_b32 v58, v10, s[sgprSrdD:sgprSrdD+3], 0, offen, offset:256 // store D
s_nop 0                                            // 1 wait state required when next inst writes vgprs held by previous dwordx4 store inst
/* optSingleColVgpr=1 optSharedColVgpr=0 optSGPRUsage=BufferLoad_Mask optSrdIncForRow=1 */
s_sleep 3 // optimization: sync and wait
s_barrier

/******************************************/
/* Global Write Alpha Beta Batch #1 (d1,d0,vc1,vc0) = */
/*    (2,0,0,0:vw2); (2,1,0,0:vw2); (2,0,1,0:vw2); (2,1,1,0:vw2); (2,0,2,0:vw2); (2,1,2,0:vw2); (2,0,3,0:vw2); (2,1,3,0:vw2); (3,0,0,0:vw2); (3,1,0,0:vw2); (3,0,1,0:vw2); (3,1,1,0:vw2); (3,0,2,0:vw2); (3,1,2,0:vw2); (3,0,3,0:vw2); (3,1,3,0:vw2) */
/******************************************/

/* calc coords, apply mask, and issue loads (if necessary) */
/* (d1,vc1,d0,vc0)=(2,0,0,0) */
/* (d1,vc1,d0,vc0)=(2,0,1,0) */
	;; [unrolled: 1-line block ×16, first 2 shown]
s_mul_i32 s54, s[sgprStrideC1J], 10                // scale StrideC *= numRows(5) * bpe
s_add_u32  s[sgprSrdC+0], s[sgprSrdC+0], s54       // incToNextRow: gra SRD += inc(lower)
s_addc_u32  s[sgprSrdC+1], s[sgprSrdC+1], 0        // incToNextRow: gra SRD += inc(upper)
_buffer_load_b32 v12, v11, s[sgprSrdC:sgprSrdC+3], 0, offen offset:0 // load C for beta calc
_buffer_load_b32 v13, v11, s[sgprSrdC:sgprSrdC+3], 0, offen offset:256 // load C for beta calc
s_lshl_b32  s54, s[sgprStrideC1J], 1               // incToNextRow: Scale by BPE
s_add_u32  s[sgprSrdC+0], s[sgprSrdC+0], s54       // incToNextRow: gra SRD += inc(lower)
s_addc_u32  s[sgprSrdC+1], s[sgprSrdC+1], 0        // incToNextRow: gra SRD += inc(upper)
_buffer_load_b32 v18, v11, s[sgprSrdC:sgprSrdC+3], 0, offen offset:0 // load C for beta calc
_buffer_load_b32 v19, v11, s[sgprSrdC:sgprSrdC+3], 0, offen offset:256 // load C for beta calc
s_lshl_b32  s54, s[sgprStrideC1J], 1               // incToNextRow: Scale by BPE
	;; [unrolled: 5-line block ×3, first 2 shown]
s_add_u32  s[sgprSrdC+0], s[sgprSrdC+0], s54       // incToNextRow: gra SRD += inc(lower)
s_addc_u32  s[sgprSrdC+1], s[sgprSrdC+1], 0        // incToNextRow: gra SRD += inc(upper)
_buffer_load_b32 v30, v11, s[sgprSrdC:sgprSrdC+3], 0, offen offset:0 // load C for beta calc
_buffer_load_b32 v31, v11, s[sgprSrdC:sgprSrdC+3], 0, offen offset:256 // load C for beta calc
s_mul_i32 s54, s[sgprStrideC1J], 10                // scale StrideC *= numRows(5) * bpe
s_add_u32  s[sgprSrdC+0], s[sgprSrdC+0], s54       // incToNextRow: gra SRD += inc(lower)
s_addc_u32  s[sgprSrdC+1], s[sgprSrdC+1], 0        // incToNextRow: gra SRD += inc(upper)
_buffer_load_b32 v36, v11, s[sgprSrdC:sgprSrdC+3], 0, offen offset:0 // load C for beta calc
_buffer_load_b32 v37, v11, s[sgprSrdC:sgprSrdC+3], 0, offen offset:256 // load C for beta calc
s_lshl_b32  s54, s[sgprStrideC1J], 1               // incToNextRow: Scale by BPE
s_add_u32  s[sgprSrdC+0], s[sgprSrdC+0], s54       // incToNextRow: gra SRD += inc(lower)
s_addc_u32  s[sgprSrdC+1], s[sgprSrdC+1], 0        // incToNextRow: gra SRD += inc(upper)
_buffer_load_b32 v42, v11, s[sgprSrdC:sgprSrdC+3], 0, offen offset:0 // load C for beta calc
_buffer_load_b32 v43, v11, s[sgprSrdC:sgprSrdC+3], 0, offen offset:256 // load C for beta calc
s_lshl_b32  s54, s[sgprStrideC1J], 1               // incToNextRow: Scale by BPE
	;; [unrolled: 5-line block ×3, first 2 shown]
s_add_u32  s[sgprSrdC+0], s[sgprSrdC+0], s54       // incToNextRow: gra SRD += inc(lower)
s_addc_u32  s[sgprSrdC+1], s[sgprSrdC+1], 0        // incToNextRow: gra SRD += inc(upper)
_buffer_load_b32 v54, v11, s[sgprSrdC:sgprSrdC+3], 0, offen offset:0 // load C for beta calc
_buffer_load_b32 v55, v11, s[sgprSrdC:sgprSrdC+3], 0, offen offset:256 // load C for beta calc
s_sleep 3 // optimization: sync and wait
s_barrier
v_accvgpr_read_b32 v[vgprValuC+14], acc8 // copy acc to vreg[32]
v_accvgpr_read_b32 v[vgprValuC+15], acc24 // copy acc to vreg[33]
v_accvgpr_read_b32 v[vgprValuC+16], acc40 // copy acc to vreg[34]
v_accvgpr_read_b32 v[vgprValuC+17], acc56 // copy acc to vreg[35]
v_accvgpr_read_b32 v[vgprValuC+20], acc9 // copy acc to vreg[36]
v_accvgpr_read_b32 v[vgprValuC+21], acc25 // copy acc to vreg[37]
v_accvgpr_read_b32 v[vgprValuC+22], acc41 // copy acc to vreg[38]
v_accvgpr_read_b32 v[vgprValuC+23], acc57 // copy acc to vreg[39]
v_accvgpr_read_b32 v[vgprValuC+26], acc10 // copy acc to vreg[40]
v_accvgpr_read_b32 v[vgprValuC+27], acc26 // copy acc to vreg[41]
v_accvgpr_read_b32 v[vgprValuC+28], acc42 // copy acc to vreg[42]
v_accvgpr_read_b32 v[vgprValuC+29], acc58 // copy acc to vreg[43]
v_accvgpr_read_b32 v[vgprValuC+32], acc11 // copy acc to vreg[44]
v_accvgpr_read_b32 v[vgprValuC+33], acc27 // copy acc to vreg[45]
v_accvgpr_read_b32 v[vgprValuC+34], acc43 // copy acc to vreg[46]
v_accvgpr_read_b32 v[vgprValuC+35], acc59 // copy acc to vreg[47]
v_accvgpr_read_b32 v[vgprValuC+38], acc12 // copy acc to vreg[48]
v_accvgpr_read_b32 v[vgprValuC+39], acc28 // copy acc to vreg[49]
v_accvgpr_read_b32 v[vgprValuC+40], acc44 // copy acc to vreg[50]
v_accvgpr_read_b32 v[vgprValuC+41], acc60 // copy acc to vreg[51]
v_accvgpr_read_b32 v[vgprValuC+44], acc13 // copy acc to vreg[52]
v_accvgpr_read_b32 v[vgprValuC+45], acc29 // copy acc to vreg[53]
v_accvgpr_read_b32 v[vgprValuC+46], acc45 // copy acc to vreg[54]
v_accvgpr_read_b32 v[vgprValuC+47], acc61 // copy acc to vreg[55]
v_accvgpr_read_b32 v[vgprValuC+50], acc14 // copy acc to vreg[56]
v_accvgpr_read_b32 v[vgprValuC+51], acc30 // copy acc to vreg[57]
v_accvgpr_read_b32 v[vgprValuC+52], acc46 // copy acc to vreg[58]
v_accvgpr_read_b32 v[vgprValuC+53], acc62 // copy acc to vreg[59]
v_accvgpr_read_b32 v[vgprValuC+56], acc15 // copy acc to vreg[60]
v_accvgpr_read_b32 v[vgprValuC+57], acc31 // copy acc to vreg[61]
v_accvgpr_read_b32 v[vgprValuC+58], acc47 // copy acc to vreg[62]
v_accvgpr_read_b32 v[vgprValuC+59], acc63 // copy acc to vreg[63]
s_nop 1                                            // 2 wait states required before reading vgpr

/* rC *= alpha batchElements=[(2, 0, 0, 0), (2, 1, 0, 0), (2, 0, 1, 0), (2, 1, 1, 0), (2, 0, 2, 0), (2, 1, 2, 0), (2, 0, 3, 0), (2, 1, 3, 0), (3, 0, 0, 0), (3, 1, 0, 0), (3, 0, 1, 0), (3, 1, 1, 0), (3, 0, 2, 0), (3, 1, 2, 0), (3, 0, 3, 0), (3, 1, 3, 0)] */
v_mul_f32 v[vgprValuC+14], s[sgprAlpha], v[vgprValuC+14] // *= alpha
v_mul_f32 v[vgprValuC+15], s[sgprAlpha], v[vgprValuC+15] // *= alpha
	;; [unrolled: 1-line block ×32, first 2 shown]
s_waitcnt vmcnt(0)                                 // wait C

/* apply mask, calc new C and issue writes */
v_mov_b32 v7, 0xffff0000                           // mask for pack two bfloat16 element to 32bit
v_mov_b32 v8, 0x7fff0000                           // fp32 Nan
v_mov_b32 v9, 0x7fff                               // rounding bias for bfloat16
v_lshlrev_b32 v4, 16, v12                          // convert bf16 to fp32
_v_mac_f32 v[vgprValuC+14], v4, s[sgprBeta]        // finalSum = sum*alpha + C*beta
v_and_b32 v4, v12, v7                              // convert bf16 to fp32
_v_mac_f32 v[vgprValuC+15], v4, s[sgprBeta]        // finalSum = sum*alpha + C*beta
v_cmp_u_f32 s[54:55], v[vgprValuC+14], v[vgprValuC+14] // check Nan
v_bfe_u32 v6, v[vgprValuC+14], 16, 1               // Non-Nan case: store lsb of bf16
v_add3_u32 v6, v[vgprValuC+14], v6, v9             // Non-Nan case: add lsb and the increment for rounding
v_cndmask_b32 v[vgprValuC+14], v6, v8, s[54:55]    // 
v_lshrrev_b32 v[vgprValuC+14], 16, v[vgprValuC+14] // convert C to bf16
v_cmp_u_f32 s[54:55], v[vgprValuC+15], v[vgprValuC+15] // check Nan
v_bfe_u32 v6, v[vgprValuC+15], 16, 1               // Non-Nan case: store lsb of bf16
v_add3_u32 v6, v[vgprValuC+15], v6, v9             // Non-Nan case: add lsb and the increment for rounding
v_cndmask_b32 v[vgprValuC+15], v6, v8, s[54:55]    // 
v_and_or_b32 v14, v[vgprValuC+15], v7, v[vgprValuC+14] // pack two bf16 to dword
v_lshlrev_b32 v4, 16, v13                          // convert bf16 to fp32
_v_mac_f32 v[vgprValuC+16], v4, s[sgprBeta]        // finalSum = sum*alpha + C*beta
v_and_b32 v4, v13, v7                              // convert bf16 to fp32
_v_mac_f32 v[vgprValuC+17], v4, s[sgprBeta]        // finalSum = sum*alpha + C*beta
v_cmp_u_f32 s[54:55], v[vgprValuC+16], v[vgprValuC+16] // check Nan
v_bfe_u32 v6, v[vgprValuC+16], 16, 1               // Non-Nan case: store lsb of bf16
v_add3_u32 v6, v[vgprValuC+16], v6, v9             // Non-Nan case: add lsb and the increment for rounding
v_cndmask_b32 v[vgprValuC+16], v6, v8, s[54:55]    // 
v_lshrrev_b32 v[vgprValuC+16], 16, v[vgprValuC+16] // convert C to bf16
v_cmp_u_f32 s[54:55], v[vgprValuC+17], v[vgprValuC+17] // check Nan
v_bfe_u32 v6, v[vgprValuC+17], 16, 1               // Non-Nan case: store lsb of bf16
v_add3_u32 v6, v[vgprValuC+17], v6, v9             // Non-Nan case: add lsb and the increment for rounding
v_cndmask_b32 v[vgprValuC+17], v6, v8, s[54:55]    // 
v_and_or_b32 v16, v[vgprValuC+17], v7, v[vgprValuC+16] // pack two bf16 to dword
	;; [unrolled: 14-line block ×16, first 2 shown]
s_mul_i32 s54, s[sgprStrideD1J], 10                // scale StrideD *= numRows(5) * bpe
s_add_u32  s[sgprSrdD+0], s[sgprSrdD+0], s54       // incToNextRow: gra SRD += inc(lower)
s_addc_u32  s[sgprSrdD+1], s[sgprSrdD+1], 0        // incToNextRow: gra SRD += inc(upper)
_buffer_store_b32 v14, v10, s[sgprSrdD:sgprSrdD+3], 0, offen, offset:0 // store D
_buffer_store_b32 v16, v10, s[sgprSrdD:sgprSrdD+3], 0, offen, offset:256 // store D
s_lshl_b32  s54, s[sgprStrideD1J], 1               // incToNextRow: Scale by BPE
s_add_u32  s[sgprSrdD+0], s[sgprSrdD+0], s54       // incToNextRow: gra SRD += inc(lower)
s_addc_u32  s[sgprSrdD+1], s[sgprSrdD+1], 0        // incToNextRow: gra SRD += inc(upper)
_buffer_store_b32 v20, v10, s[sgprSrdD:sgprSrdD+3], 0, offen, offset:0 // store D
_buffer_store_b32 v22, v10, s[sgprSrdD:sgprSrdD+3], 0, offen, offset:256 // store D
s_lshl_b32  s54, s[sgprStrideD1J], 1               // incToNextRow: Scale by BPE
	;; [unrolled: 5-line block ×3, first 2 shown]
s_add_u32  s[sgprSrdD+0], s[sgprSrdD+0], s54       // incToNextRow: gra SRD += inc(lower)
s_addc_u32  s[sgprSrdD+1], s[sgprSrdD+1], 0        // incToNextRow: gra SRD += inc(upper)
_buffer_store_b32 v32, v10, s[sgprSrdD:sgprSrdD+3], 0, offen, offset:0 // store D
_buffer_store_b32 v34, v10, s[sgprSrdD:sgprSrdD+3], 0, offen, offset:256 // store D
s_mul_i32 s54, s[sgprStrideD1J], 10                // scale StrideD *= numRows(5) * bpe
s_add_u32  s[sgprSrdD+0], s[sgprSrdD+0], s54       // incToNextRow: gra SRD += inc(lower)
s_addc_u32  s[sgprSrdD+1], s[sgprSrdD+1], 0        // incToNextRow: gra SRD += inc(upper)
_buffer_store_b32 v38, v10, s[sgprSrdD:sgprSrdD+3], 0, offen, offset:0 // store D
_buffer_store_b32 v40, v10, s[sgprSrdD:sgprSrdD+3], 0, offen, offset:256 // store D
s_lshl_b32  s54, s[sgprStrideD1J], 1               // incToNextRow: Scale by BPE
s_add_u32  s[sgprSrdD+0], s[sgprSrdD+0], s54       // incToNextRow: gra SRD += inc(lower)
s_addc_u32  s[sgprSrdD+1], s[sgprSrdD+1], 0        // incToNextRow: gra SRD += inc(upper)
_buffer_store_b32 v44, v10, s[sgprSrdD:sgprSrdD+3], 0, offen, offset:0 // store D
_buffer_store_b32 v46, v10, s[sgprSrdD:sgprSrdD+3], 0, offen, offset:256 // store D
s_lshl_b32  s54, s[sgprStrideD1J], 1               // incToNextRow: Scale by BPE
	;; [unrolled: 5-line block ×3, first 2 shown]
s_add_u32  s[sgprSrdD+0], s[sgprSrdD+0], s54       // incToNextRow: gra SRD += inc(lower)
s_addc_u32  s[sgprSrdD+1], s[sgprSrdD+1], 0        // incToNextRow: gra SRD += inc(upper)
_buffer_store_b32 v56, v10, s[sgprSrdD:sgprSrdD+3], 0, offen, offset:0 // store D
_buffer_store_b32 v58, v10, s[sgprSrdD:sgprSrdD+3], 0, offen, offset:256 // store D
s_nop 0                                            // 1 wait state required when next inst writes vgprs held by previous dwordx4 store inst
/* optSingleColVgpr=1 optSharedColVgpr=0 optSGPRUsage=BufferLoad_Mask optSrdIncForRow=1 */
s_sleep 3 // optimization: sync and wait
s_barrier

/******************************************/
/* Global Write Alpha Beta Batch #2 (d1,d0,vc1,vc0) = */
/*    (4,0,0,0:vw2); (4,1,0,0:vw2); (4,0,1,0:vw2); (4,1,1,0:vw2); (4,0,2,0:vw2); (4,1,2,0:vw2); (4,0,3,0:vw2); (4,1,3,0:vw2); (5,0,0,0:vw2); (5,1,0,0:vw2); (5,0,1,0:vw2); (5,1,1,0:vw2); (5,0,2,0:vw2); (5,1,2,0:vw2); (5,0,3,0:vw2); (5,1,3,0:vw2) */
/******************************************/

/* calc coords, apply mask, and issue loads (if necessary) */
/* (d1,vc1,d0,vc0)=(4,0,0,0) */
/* (d1,vc1,d0,vc0)=(4,0,1,0) */
	;; [unrolled: 1-line block ×16, first 2 shown]
s_mul_i32 s54, s[sgprStrideC1J], 74                // scale StrideC *= numRows(37) * bpe
s_add_u32  s[sgprSrdC+0], s[sgprSrdC+0], s54       // incToNextRow: gra SRD += inc(lower)
s_addc_u32  s[sgprSrdC+1], s[sgprSrdC+1], 0        // incToNextRow: gra SRD += inc(upper)
_buffer_load_b32 v12, v11, s[sgprSrdC:sgprSrdC+3], 0, offen offset:0 // load C for beta calc
_buffer_load_b32 v13, v11, s[sgprSrdC:sgprSrdC+3], 0, offen offset:256 // load C for beta calc
s_lshl_b32  s54, s[sgprStrideC1J], 1               // incToNextRow: Scale by BPE
s_add_u32  s[sgprSrdC+0], s[sgprSrdC+0], s54       // incToNextRow: gra SRD += inc(lower)
s_addc_u32  s[sgprSrdC+1], s[sgprSrdC+1], 0        // incToNextRow: gra SRD += inc(upper)
_buffer_load_b32 v18, v11, s[sgprSrdC:sgprSrdC+3], 0, offen offset:0 // load C for beta calc
_buffer_load_b32 v19, v11, s[sgprSrdC:sgprSrdC+3], 0, offen offset:256 // load C for beta calc
s_lshl_b32  s54, s[sgprStrideC1J], 1               // incToNextRow: Scale by BPE
s_add_u32  s[sgprSrdC+0], s[sgprSrdC+0], s54       // incToNextRow: gra SRD += inc(lower)
s_addc_u32  s[sgprSrdC+1], s[sgprSrdC+1], 0        // incToNextRow: gra SRD += inc(upper)
_buffer_load_b32 v24, v11, s[sgprSrdC:sgprSrdC+3], 0, offen offset:0 // load C for beta calc
_buffer_load_b32 v25, v11, s[sgprSrdC:sgprSrdC+3], 0, offen offset:256 // load C for beta calc
s_lshl_b32  s54, s[sgprStrideC1J], 1               // incToNextRow: Scale by BPE
s_add_u32  s[sgprSrdC+0], s[sgprSrdC+0], s54       // incToNextRow: gra SRD += inc(lower)
s_addc_u32  s[sgprSrdC+1], s[sgprSrdC+1], 0        // incToNextRow: gra SRD += inc(upper)
_buffer_load_b32 v30, v11, s[sgprSrdC:sgprSrdC+3], 0, offen offset:0 // load C for beta calc
_buffer_load_b32 v31, v11, s[sgprSrdC:sgprSrdC+3], 0, offen offset:256 // load C for beta calc
s_mul_i32 s54, s[sgprStrideC1J], 10                // scale StrideC *= numRows(5) * bpe
s_add_u32  s[sgprSrdC+0], s[sgprSrdC+0], s54       // incToNextRow: gra SRD += inc(lower)
s_addc_u32  s[sgprSrdC+1], s[sgprSrdC+1], 0        // incToNextRow: gra SRD += inc(upper)
_buffer_load_b32 v36, v11, s[sgprSrdC:sgprSrdC+3], 0, offen offset:0 // load C for beta calc
_buffer_load_b32 v37, v11, s[sgprSrdC:sgprSrdC+3], 0, offen offset:256 // load C for beta calc
s_lshl_b32  s54, s[sgprStrideC1J], 1               // incToNextRow: Scale by BPE
s_add_u32  s[sgprSrdC+0], s[sgprSrdC+0], s54       // incToNextRow: gra SRD += inc(lower)
s_addc_u32  s[sgprSrdC+1], s[sgprSrdC+1], 0        // incToNextRow: gra SRD += inc(upper)
_buffer_load_b32 v42, v11, s[sgprSrdC:sgprSrdC+3], 0, offen offset:0 // load C for beta calc
_buffer_load_b32 v43, v11, s[sgprSrdC:sgprSrdC+3], 0, offen offset:256 // load C for beta calc
s_lshl_b32  s54, s[sgprStrideC1J], 1               // incToNextRow: Scale by BPE
	;; [unrolled: 5-line block ×3, first 2 shown]
s_add_u32  s[sgprSrdC+0], s[sgprSrdC+0], s54       // incToNextRow: gra SRD += inc(lower)
s_addc_u32  s[sgprSrdC+1], s[sgprSrdC+1], 0        // incToNextRow: gra SRD += inc(upper)
_buffer_load_b32 v54, v11, s[sgprSrdC:sgprSrdC+3], 0, offen offset:0 // load C for beta calc
_buffer_load_b32 v55, v11, s[sgprSrdC:sgprSrdC+3], 0, offen offset:256 // load C for beta calc
s_sleep 3 // optimization: sync and wait
s_barrier
v_accvgpr_read_b32 v[vgprValuC+14], acc64 // copy acc to vreg[64]
v_accvgpr_read_b32 v[vgprValuC+15], acc80 // copy acc to vreg[65]
v_accvgpr_read_b32 v[vgprValuC+16], acc96 // copy acc to vreg[66]
v_accvgpr_read_b32 v[vgprValuC+17], acc112 // copy acc to vreg[67]
v_accvgpr_read_b32 v[vgprValuC+20], acc65 // copy acc to vreg[68]
v_accvgpr_read_b32 v[vgprValuC+21], acc81 // copy acc to vreg[69]
v_accvgpr_read_b32 v[vgprValuC+22], acc97 // copy acc to vreg[70]
v_accvgpr_read_b32 v[vgprValuC+23], acc113 // copy acc to vreg[71]
v_accvgpr_read_b32 v[vgprValuC+26], acc66 // copy acc to vreg[72]
v_accvgpr_read_b32 v[vgprValuC+27], acc82 // copy acc to vreg[73]
v_accvgpr_read_b32 v[vgprValuC+28], acc98 // copy acc to vreg[74]
v_accvgpr_read_b32 v[vgprValuC+29], acc114 // copy acc to vreg[75]
v_accvgpr_read_b32 v[vgprValuC+32], acc67 // copy acc to vreg[76]
v_accvgpr_read_b32 v[vgprValuC+33], acc83 // copy acc to vreg[77]
v_accvgpr_read_b32 v[vgprValuC+34], acc99 // copy acc to vreg[78]
v_accvgpr_read_b32 v[vgprValuC+35], acc115 // copy acc to vreg[79]
v_accvgpr_read_b32 v[vgprValuC+38], acc68 // copy acc to vreg[80]
v_accvgpr_read_b32 v[vgprValuC+39], acc84 // copy acc to vreg[81]
v_accvgpr_read_b32 v[vgprValuC+40], acc100 // copy acc to vreg[82]
v_accvgpr_read_b32 v[vgprValuC+41], acc116 // copy acc to vreg[83]
v_accvgpr_read_b32 v[vgprValuC+44], acc69 // copy acc to vreg[84]
v_accvgpr_read_b32 v[vgprValuC+45], acc85 // copy acc to vreg[85]
v_accvgpr_read_b32 v[vgprValuC+46], acc101 // copy acc to vreg[86]
v_accvgpr_read_b32 v[vgprValuC+47], acc117 // copy acc to vreg[87]
v_accvgpr_read_b32 v[vgprValuC+50], acc70 // copy acc to vreg[88]
v_accvgpr_read_b32 v[vgprValuC+51], acc86 // copy acc to vreg[89]
v_accvgpr_read_b32 v[vgprValuC+52], acc102 // copy acc to vreg[90]
v_accvgpr_read_b32 v[vgprValuC+53], acc118 // copy acc to vreg[91]
v_accvgpr_read_b32 v[vgprValuC+56], acc71 // copy acc to vreg[92]
v_accvgpr_read_b32 v[vgprValuC+57], acc87 // copy acc to vreg[93]
v_accvgpr_read_b32 v[vgprValuC+58], acc103 // copy acc to vreg[94]
v_accvgpr_read_b32 v[vgprValuC+59], acc119 // copy acc to vreg[95]
s_nop 1                                            // 2 wait states required before reading vgpr

/* rC *= alpha batchElements=[(4, 0, 0, 0), (4, 1, 0, 0), (4, 0, 1, 0), (4, 1, 1, 0), (4, 0, 2, 0), (4, 1, 2, 0), (4, 0, 3, 0), (4, 1, 3, 0), (5, 0, 0, 0), (5, 1, 0, 0), (5, 0, 1, 0), (5, 1, 1, 0), (5, 0, 2, 0), (5, 1, 2, 0), (5, 0, 3, 0), (5, 1, 3, 0)] */
v_mul_f32 v[vgprValuC+14], s[sgprAlpha], v[vgprValuC+14] // *= alpha
v_mul_f32 v[vgprValuC+15], s[sgprAlpha], v[vgprValuC+15] // *= alpha
	;; [unrolled: 1-line block ×32, first 2 shown]
s_waitcnt vmcnt(0)                                 // wait C

/* apply mask, calc new C and issue writes */
v_mov_b32 v7, 0xffff0000                           // mask for pack two bfloat16 element to 32bit
v_mov_b32 v8, 0x7fff0000                           // fp32 Nan
v_mov_b32 v9, 0x7fff                               // rounding bias for bfloat16
v_lshlrev_b32 v4, 16, v12                          // convert bf16 to fp32
_v_mac_f32 v[vgprValuC+14], v4, s[sgprBeta]        // finalSum = sum*alpha + C*beta
v_and_b32 v4, v12, v7                              // convert bf16 to fp32
_v_mac_f32 v[vgprValuC+15], v4, s[sgprBeta]        // finalSum = sum*alpha + C*beta
v_cmp_u_f32 s[54:55], v[vgprValuC+14], v[vgprValuC+14] // check Nan
v_bfe_u32 v6, v[vgprValuC+14], 16, 1               // Non-Nan case: store lsb of bf16
v_add3_u32 v6, v[vgprValuC+14], v6, v9             // Non-Nan case: add lsb and the increment for rounding
v_cndmask_b32 v[vgprValuC+14], v6, v8, s[54:55]    // 
v_lshrrev_b32 v[vgprValuC+14], 16, v[vgprValuC+14] // convert C to bf16
v_cmp_u_f32 s[54:55], v[vgprValuC+15], v[vgprValuC+15] // check Nan
v_bfe_u32 v6, v[vgprValuC+15], 16, 1               // Non-Nan case: store lsb of bf16
v_add3_u32 v6, v[vgprValuC+15], v6, v9             // Non-Nan case: add lsb and the increment for rounding
v_cndmask_b32 v[vgprValuC+15], v6, v8, s[54:55]    // 
v_and_or_b32 v14, v[vgprValuC+15], v7, v[vgprValuC+14] // pack two bf16 to dword
v_lshlrev_b32 v4, 16, v13                          // convert bf16 to fp32
_v_mac_f32 v[vgprValuC+16], v4, s[sgprBeta]        // finalSum = sum*alpha + C*beta
v_and_b32 v4, v13, v7                              // convert bf16 to fp32
_v_mac_f32 v[vgprValuC+17], v4, s[sgprBeta]        // finalSum = sum*alpha + C*beta
v_cmp_u_f32 s[54:55], v[vgprValuC+16], v[vgprValuC+16] // check Nan
v_bfe_u32 v6, v[vgprValuC+16], 16, 1               // Non-Nan case: store lsb of bf16
v_add3_u32 v6, v[vgprValuC+16], v6, v9             // Non-Nan case: add lsb and the increment for rounding
v_cndmask_b32 v[vgprValuC+16], v6, v8, s[54:55]    // 
v_lshrrev_b32 v[vgprValuC+16], 16, v[vgprValuC+16] // convert C to bf16
v_cmp_u_f32 s[54:55], v[vgprValuC+17], v[vgprValuC+17] // check Nan
v_bfe_u32 v6, v[vgprValuC+17], 16, 1               // Non-Nan case: store lsb of bf16
v_add3_u32 v6, v[vgprValuC+17], v6, v9             // Non-Nan case: add lsb and the increment for rounding
v_cndmask_b32 v[vgprValuC+17], v6, v8, s[54:55]    // 
v_and_or_b32 v16, v[vgprValuC+17], v7, v[vgprValuC+16] // pack two bf16 to dword
	;; [unrolled: 14-line block ×16, first 2 shown]
s_mul_i32 s54, s[sgprStrideD1J], 74                // scale StrideD *= numRows(37) * bpe
s_add_u32  s[sgprSrdD+0], s[sgprSrdD+0], s54       // incToNextRow: gra SRD += inc(lower)
s_addc_u32  s[sgprSrdD+1], s[sgprSrdD+1], 0        // incToNextRow: gra SRD += inc(upper)
_buffer_store_b32 v14, v10, s[sgprSrdD:sgprSrdD+3], 0, offen, offset:0 // store D
_buffer_store_b32 v16, v10, s[sgprSrdD:sgprSrdD+3], 0, offen, offset:256 // store D
s_lshl_b32  s54, s[sgprStrideD1J], 1               // incToNextRow: Scale by BPE
s_add_u32  s[sgprSrdD+0], s[sgprSrdD+0], s54       // incToNextRow: gra SRD += inc(lower)
s_addc_u32  s[sgprSrdD+1], s[sgprSrdD+1], 0        // incToNextRow: gra SRD += inc(upper)
_buffer_store_b32 v20, v10, s[sgprSrdD:sgprSrdD+3], 0, offen, offset:0 // store D
_buffer_store_b32 v22, v10, s[sgprSrdD:sgprSrdD+3], 0, offen, offset:256 // store D
s_lshl_b32  s54, s[sgprStrideD1J], 1               // incToNextRow: Scale by BPE
	;; [unrolled: 5-line block ×3, first 2 shown]
s_add_u32  s[sgprSrdD+0], s[sgprSrdD+0], s54       // incToNextRow: gra SRD += inc(lower)
s_addc_u32  s[sgprSrdD+1], s[sgprSrdD+1], 0        // incToNextRow: gra SRD += inc(upper)
_buffer_store_b32 v32, v10, s[sgprSrdD:sgprSrdD+3], 0, offen, offset:0 // store D
_buffer_store_b32 v34, v10, s[sgprSrdD:sgprSrdD+3], 0, offen, offset:256 // store D
s_mul_i32 s54, s[sgprStrideD1J], 10                // scale StrideD *= numRows(5) * bpe
s_add_u32  s[sgprSrdD+0], s[sgprSrdD+0], s54       // incToNextRow: gra SRD += inc(lower)
s_addc_u32  s[sgprSrdD+1], s[sgprSrdD+1], 0        // incToNextRow: gra SRD += inc(upper)
_buffer_store_b32 v38, v10, s[sgprSrdD:sgprSrdD+3], 0, offen, offset:0 // store D
_buffer_store_b32 v40, v10, s[sgprSrdD:sgprSrdD+3], 0, offen, offset:256 // store D
s_lshl_b32  s54, s[sgprStrideD1J], 1               // incToNextRow: Scale by BPE
s_add_u32  s[sgprSrdD+0], s[sgprSrdD+0], s54       // incToNextRow: gra SRD += inc(lower)
s_addc_u32  s[sgprSrdD+1], s[sgprSrdD+1], 0        // incToNextRow: gra SRD += inc(upper)
_buffer_store_b32 v44, v10, s[sgprSrdD:sgprSrdD+3], 0, offen, offset:0 // store D
_buffer_store_b32 v46, v10, s[sgprSrdD:sgprSrdD+3], 0, offen, offset:256 // store D
s_lshl_b32  s54, s[sgprStrideD1J], 1               // incToNextRow: Scale by BPE
	;; [unrolled: 5-line block ×3, first 2 shown]
s_add_u32  s[sgprSrdD+0], s[sgprSrdD+0], s54       // incToNextRow: gra SRD += inc(lower)
s_addc_u32  s[sgprSrdD+1], s[sgprSrdD+1], 0        // incToNextRow: gra SRD += inc(upper)
_buffer_store_b32 v56, v10, s[sgprSrdD:sgprSrdD+3], 0, offen, offset:0 // store D
_buffer_store_b32 v58, v10, s[sgprSrdD:sgprSrdD+3], 0, offen, offset:256 // store D
s_nop 0                                            // 1 wait state required when next inst writes vgprs held by previous dwordx4 store inst
/* optSingleColVgpr=1 optSharedColVgpr=0 optSGPRUsage=BufferLoad_Mask optSrdIncForRow=1 */
s_sleep 3 // optimization: sync and wait
s_barrier

/******************************************/
/* Global Write Alpha Beta Batch #3 (d1,d0,vc1,vc0) = */
/*    (6,0,0,0:vw2); (6,1,0,0:vw2); (6,0,1,0:vw2); (6,1,1,0:vw2); (6,0,2,0:vw2); (6,1,2,0:vw2); (6,0,3,0:vw2); (6,1,3,0:vw2); (7,0,0,0:vw2); (7,1,0,0:vw2); (7,0,1,0:vw2); (7,1,1,0:vw2); (7,0,2,0:vw2); (7,1,2,0:vw2); (7,0,3,0:vw2); (7,1,3,0:vw2) */
/******************************************/

/* calc coords, apply mask, and issue loads (if necessary) */
/* (d1,vc1,d0,vc0)=(6,0,0,0) */
/* (d1,vc1,d0,vc0)=(6,0,1,0) */
	;; [unrolled: 1-line block ×16, first 2 shown]
s_mul_i32 s54, s[sgprStrideC1J], 10                // scale StrideC *= numRows(5) * bpe
s_add_u32  s[sgprSrdC+0], s[sgprSrdC+0], s54       // incToNextRow: gra SRD += inc(lower)
s_addc_u32  s[sgprSrdC+1], s[sgprSrdC+1], 0        // incToNextRow: gra SRD += inc(upper)
_buffer_load_b32 v12, v11, s[sgprSrdC:sgprSrdC+3], 0, offen offset:0 // load C for beta calc
_buffer_load_b32 v13, v11, s[sgprSrdC:sgprSrdC+3], 0, offen offset:256 // load C for beta calc
s_lshl_b32  s54, s[sgprStrideC1J], 1               // incToNextRow: Scale by BPE
s_add_u32  s[sgprSrdC+0], s[sgprSrdC+0], s54       // incToNextRow: gra SRD += inc(lower)
s_addc_u32  s[sgprSrdC+1], s[sgprSrdC+1], 0        // incToNextRow: gra SRD += inc(upper)
_buffer_load_b32 v18, v11, s[sgprSrdC:sgprSrdC+3], 0, offen offset:0 // load C for beta calc
_buffer_load_b32 v19, v11, s[sgprSrdC:sgprSrdC+3], 0, offen offset:256 // load C for beta calc
s_lshl_b32  s54, s[sgprStrideC1J], 1               // incToNextRow: Scale by BPE
	;; [unrolled: 5-line block ×3, first 2 shown]
s_add_u32  s[sgprSrdC+0], s[sgprSrdC+0], s54       // incToNextRow: gra SRD += inc(lower)
s_addc_u32  s[sgprSrdC+1], s[sgprSrdC+1], 0        // incToNextRow: gra SRD += inc(upper)
_buffer_load_b32 v30, v11, s[sgprSrdC:sgprSrdC+3], 0, offen offset:0 // load C for beta calc
_buffer_load_b32 v31, v11, s[sgprSrdC:sgprSrdC+3], 0, offen offset:256 // load C for beta calc
s_mul_i32 s54, s[sgprStrideC1J], 10                // scale StrideC *= numRows(5) * bpe
s_add_u32  s[sgprSrdC+0], s[sgprSrdC+0], s54       // incToNextRow: gra SRD += inc(lower)
s_addc_u32  s[sgprSrdC+1], s[sgprSrdC+1], 0        // incToNextRow: gra SRD += inc(upper)
_buffer_load_b32 v36, v11, s[sgprSrdC:sgprSrdC+3], 0, offen offset:0 // load C for beta calc
_buffer_load_b32 v37, v11, s[sgprSrdC:sgprSrdC+3], 0, offen offset:256 // load C for beta calc
s_lshl_b32  s54, s[sgprStrideC1J], 1               // incToNextRow: Scale by BPE
s_add_u32  s[sgprSrdC+0], s[sgprSrdC+0], s54       // incToNextRow: gra SRD += inc(lower)
s_addc_u32  s[sgprSrdC+1], s[sgprSrdC+1], 0        // incToNextRow: gra SRD += inc(upper)
_buffer_load_b32 v42, v11, s[sgprSrdC:sgprSrdC+3], 0, offen offset:0 // load C for beta calc
_buffer_load_b32 v43, v11, s[sgprSrdC:sgprSrdC+3], 0, offen offset:256 // load C for beta calc
s_lshl_b32  s54, s[sgprStrideC1J], 1               // incToNextRow: Scale by BPE
	;; [unrolled: 5-line block ×3, first 2 shown]
s_add_u32  s[sgprSrdC+0], s[sgprSrdC+0], s54       // incToNextRow: gra SRD += inc(lower)
s_addc_u32  s[sgprSrdC+1], s[sgprSrdC+1], 0        // incToNextRow: gra SRD += inc(upper)
_buffer_load_b32 v54, v11, s[sgprSrdC:sgprSrdC+3], 0, offen offset:0 // load C for beta calc
_buffer_load_b32 v55, v11, s[sgprSrdC:sgprSrdC+3], 0, offen offset:256 // load C for beta calc
s_sleep 3 // optimization: sync and wait
s_barrier
v_accvgpr_read_b32 v[vgprValuC+14], acc72 // copy acc to vreg[96]
v_accvgpr_read_b32 v[vgprValuC+15], acc88 // copy acc to vreg[97]
v_accvgpr_read_b32 v[vgprValuC+16], acc104 // copy acc to vreg[98]
v_accvgpr_read_b32 v[vgprValuC+17], acc120 // copy acc to vreg[99]
v_accvgpr_read_b32 v[vgprValuC+20], acc73 // copy acc to vreg[100]
v_accvgpr_read_b32 v[vgprValuC+21], acc89 // copy acc to vreg[101]
v_accvgpr_read_b32 v[vgprValuC+22], acc105 // copy acc to vreg[102]
v_accvgpr_read_b32 v[vgprValuC+23], acc121 // copy acc to vreg[103]
v_accvgpr_read_b32 v[vgprValuC+26], acc74 // copy acc to vreg[104]
v_accvgpr_read_b32 v[vgprValuC+27], acc90 // copy acc to vreg[105]
v_accvgpr_read_b32 v[vgprValuC+28], acc106 // copy acc to vreg[106]
v_accvgpr_read_b32 v[vgprValuC+29], acc122 // copy acc to vreg[107]
v_accvgpr_read_b32 v[vgprValuC+32], acc75 // copy acc to vreg[108]
v_accvgpr_read_b32 v[vgprValuC+33], acc91 // copy acc to vreg[109]
v_accvgpr_read_b32 v[vgprValuC+34], acc107 // copy acc to vreg[110]
v_accvgpr_read_b32 v[vgprValuC+35], acc123 // copy acc to vreg[111]
v_accvgpr_read_b32 v[vgprValuC+38], acc76 // copy acc to vreg[112]
v_accvgpr_read_b32 v[vgprValuC+39], acc92 // copy acc to vreg[113]
v_accvgpr_read_b32 v[vgprValuC+40], acc108 // copy acc to vreg[114]
v_accvgpr_read_b32 v[vgprValuC+41], acc124 // copy acc to vreg[115]
v_accvgpr_read_b32 v[vgprValuC+44], acc77 // copy acc to vreg[116]
v_accvgpr_read_b32 v[vgprValuC+45], acc93 // copy acc to vreg[117]
v_accvgpr_read_b32 v[vgprValuC+46], acc109 // copy acc to vreg[118]
v_accvgpr_read_b32 v[vgprValuC+47], acc125 // copy acc to vreg[119]
v_accvgpr_read_b32 v[vgprValuC+50], acc78 // copy acc to vreg[120]
v_accvgpr_read_b32 v[vgprValuC+51], acc94 // copy acc to vreg[121]
v_accvgpr_read_b32 v[vgprValuC+52], acc110 // copy acc to vreg[122]
v_accvgpr_read_b32 v[vgprValuC+53], acc126 // copy acc to vreg[123]
v_accvgpr_read_b32 v[vgprValuC+56], acc79 // copy acc to vreg[124]
v_accvgpr_read_b32 v[vgprValuC+57], acc95 // copy acc to vreg[125]
v_accvgpr_read_b32 v[vgprValuC+58], acc111 // copy acc to vreg[126]
v_accvgpr_read_b32 v[vgprValuC+59], acc127 // copy acc to vreg[127]
s_nop 1                                            // 2 wait states required before reading vgpr

/* rC *= alpha batchElements=[(6, 0, 0, 0), (6, 1, 0, 0), (6, 0, 1, 0), (6, 1, 1, 0), (6, 0, 2, 0), (6, 1, 2, 0), (6, 0, 3, 0), (6, 1, 3, 0), (7, 0, 0, 0), (7, 1, 0, 0), (7, 0, 1, 0), (7, 1, 1, 0), (7, 0, 2, 0), (7, 1, 2, 0), (7, 0, 3, 0), (7, 1, 3, 0)] */
v_mul_f32 v[vgprValuC+14], s[sgprAlpha], v[vgprValuC+14] // *= alpha
v_mul_f32 v[vgprValuC+15], s[sgprAlpha], v[vgprValuC+15] // *= alpha
	;; [unrolled: 1-line block ×32, first 2 shown]
s_waitcnt vmcnt(0)                                 // wait C

/* apply mask, calc new C and issue writes */
v_mov_b32 v7, 0xffff0000                           // mask for pack two bfloat16 element to 32bit
v_mov_b32 v8, 0x7fff0000                           // fp32 Nan
v_mov_b32 v9, 0x7fff                               // rounding bias for bfloat16
v_lshlrev_b32 v4, 16, v12                          // convert bf16 to fp32
_v_mac_f32 v[vgprValuC+14], v4, s[sgprBeta]        // finalSum = sum*alpha + C*beta
v_and_b32 v4, v12, v7                              // convert bf16 to fp32
_v_mac_f32 v[vgprValuC+15], v4, s[sgprBeta]        // finalSum = sum*alpha + C*beta
v_cmp_u_f32 s[54:55], v[vgprValuC+14], v[vgprValuC+14] // check Nan
v_bfe_u32 v6, v[vgprValuC+14], 16, 1               // Non-Nan case: store lsb of bf16
v_add3_u32 v6, v[vgprValuC+14], v6, v9             // Non-Nan case: add lsb and the increment for rounding
v_cndmask_b32 v[vgprValuC+14], v6, v8, s[54:55]    // 
v_lshrrev_b32 v[vgprValuC+14], 16, v[vgprValuC+14] // convert C to bf16
v_cmp_u_f32 s[54:55], v[vgprValuC+15], v[vgprValuC+15] // check Nan
v_bfe_u32 v6, v[vgprValuC+15], 16, 1               // Non-Nan case: store lsb of bf16
v_add3_u32 v6, v[vgprValuC+15], v6, v9             // Non-Nan case: add lsb and the increment for rounding
v_cndmask_b32 v[vgprValuC+15], v6, v8, s[54:55]    // 
v_and_or_b32 v14, v[vgprValuC+15], v7, v[vgprValuC+14] // pack two bf16 to dword
v_lshlrev_b32 v4, 16, v13                          // convert bf16 to fp32
_v_mac_f32 v[vgprValuC+16], v4, s[sgprBeta]        // finalSum = sum*alpha + C*beta
v_and_b32 v4, v13, v7                              // convert bf16 to fp32
_v_mac_f32 v[vgprValuC+17], v4, s[sgprBeta]        // finalSum = sum*alpha + C*beta
v_cmp_u_f32 s[54:55], v[vgprValuC+16], v[vgprValuC+16] // check Nan
v_bfe_u32 v6, v[vgprValuC+16], 16, 1               // Non-Nan case: store lsb of bf16
v_add3_u32 v6, v[vgprValuC+16], v6, v9             // Non-Nan case: add lsb and the increment for rounding
v_cndmask_b32 v[vgprValuC+16], v6, v8, s[54:55]    // 
v_lshrrev_b32 v[vgprValuC+16], 16, v[vgprValuC+16] // convert C to bf16
v_cmp_u_f32 s[54:55], v[vgprValuC+17], v[vgprValuC+17] // check Nan
v_bfe_u32 v6, v[vgprValuC+17], 16, 1               // Non-Nan case: store lsb of bf16
v_add3_u32 v6, v[vgprValuC+17], v6, v9             // Non-Nan case: add lsb and the increment for rounding
v_cndmask_b32 v[vgprValuC+17], v6, v8, s[54:55]    // 
v_and_or_b32 v16, v[vgprValuC+17], v7, v[vgprValuC+16] // pack two bf16 to dword
	;; [unrolled: 14-line block ×16, first 2 shown]
s_mul_i32 s54, s[sgprStrideD1J], 10                // scale StrideD *= numRows(5) * bpe
s_add_u32  s[sgprSrdD+0], s[sgprSrdD+0], s54       // incToNextRow: gra SRD += inc(lower)
s_addc_u32  s[sgprSrdD+1], s[sgprSrdD+1], 0        // incToNextRow: gra SRD += inc(upper)
_buffer_store_b32 v14, v10, s[sgprSrdD:sgprSrdD+3], 0, offen, offset:0 // store D
_buffer_store_b32 v16, v10, s[sgprSrdD:sgprSrdD+3], 0, offen, offset:256 // store D
s_lshl_b32  s54, s[sgprStrideD1J], 1               // incToNextRow: Scale by BPE
s_add_u32  s[sgprSrdD+0], s[sgprSrdD+0], s54       // incToNextRow: gra SRD += inc(lower)
s_addc_u32  s[sgprSrdD+1], s[sgprSrdD+1], 0        // incToNextRow: gra SRD += inc(upper)
_buffer_store_b32 v20, v10, s[sgprSrdD:sgprSrdD+3], 0, offen, offset:0 // store D
_buffer_store_b32 v22, v10, s[sgprSrdD:sgprSrdD+3], 0, offen, offset:256 // store D
s_lshl_b32  s54, s[sgprStrideD1J], 1               // incToNextRow: Scale by BPE
	;; [unrolled: 5-line block ×3, first 2 shown]
s_add_u32  s[sgprSrdD+0], s[sgprSrdD+0], s54       // incToNextRow: gra SRD += inc(lower)
s_addc_u32  s[sgprSrdD+1], s[sgprSrdD+1], 0        // incToNextRow: gra SRD += inc(upper)
_buffer_store_b32 v32, v10, s[sgprSrdD:sgprSrdD+3], 0, offen, offset:0 // store D
_buffer_store_b32 v34, v10, s[sgprSrdD:sgprSrdD+3], 0, offen, offset:256 // store D
s_mul_i32 s54, s[sgprStrideD1J], 10                // scale StrideD *= numRows(5) * bpe
s_add_u32  s[sgprSrdD+0], s[sgprSrdD+0], s54       // incToNextRow: gra SRD += inc(lower)
s_addc_u32  s[sgprSrdD+1], s[sgprSrdD+1], 0        // incToNextRow: gra SRD += inc(upper)
_buffer_store_b32 v38, v10, s[sgprSrdD:sgprSrdD+3], 0, offen, offset:0 // store D
_buffer_store_b32 v40, v10, s[sgprSrdD:sgprSrdD+3], 0, offen, offset:256 // store D
s_lshl_b32  s54, s[sgprStrideD1J], 1               // incToNextRow: Scale by BPE
s_add_u32  s[sgprSrdD+0], s[sgprSrdD+0], s54       // incToNextRow: gra SRD += inc(lower)
s_addc_u32  s[sgprSrdD+1], s[sgprSrdD+1], 0        // incToNextRow: gra SRD += inc(upper)
_buffer_store_b32 v44, v10, s[sgprSrdD:sgprSrdD+3], 0, offen, offset:0 // store D
_buffer_store_b32 v46, v10, s[sgprSrdD:sgprSrdD+3], 0, offen, offset:256 // store D
s_lshl_b32  s54, s[sgprStrideD1J], 1               // incToNextRow: Scale by BPE
	;; [unrolled: 5-line block ×3, first 2 shown]
s_add_u32  s[sgprSrdD+0], s[sgprSrdD+0], s54       // incToNextRow: gra SRD += inc(lower)
s_addc_u32  s[sgprSrdD+1], s[sgprSrdD+1], 0        // incToNextRow: gra SRD += inc(upper)
_buffer_store_b32 v56, v10, s[sgprSrdD:sgprSrdD+3], 0, offen, offset:0 // store D
_buffer_store_b32 v58, v10, s[sgprSrdD:sgprSrdD+3], 0, offen, offset:256 // store D
s_nop 0                                            // 1 wait state required when next inst writes vgprs held by previous dwordx4 store inst
/* optSingleColVgpr=1 optSharedColVgpr=0 optSGPRUsage=BufferLoad_Mask optSrdIncForRow=1 */
s_sleep 3 // optimization: sync and wait
s_barrier

/******************************************/
/* Global Write Alpha Beta Batch #4 (d1,d0,vc1,vc0) = */
/*    (8,0,0,0:vw2); (8,1,0,0:vw2); (8,0,1,0:vw2); (8,1,1,0:vw2); (8,0,2,0:vw2); (8,1,2,0:vw2); (8,0,3,0:vw2); (8,1,3,0:vw2); (9,0,0,0:vw2); (9,1,0,0:vw2); (9,0,1,0:vw2); (9,1,1,0:vw2); (9,0,2,0:vw2); (9,1,2,0:vw2); (9,0,3,0:vw2); (9,1,3,0:vw2) */
/******************************************/

/* calc coords, apply mask, and issue loads (if necessary) */
/* (d1,vc1,d0,vc0)=(8,0,0,0) */
/* (d1,vc1,d0,vc0)=(8,0,1,0) */
	;; [unrolled: 1-line block ×16, first 2 shown]
s_mul_i32 s54, s[sgprStrideC1J], 74                // scale StrideC *= numRows(37) * bpe
s_add_u32  s[sgprSrdC+0], s[sgprSrdC+0], s54       // incToNextRow: gra SRD += inc(lower)
s_addc_u32  s[sgprSrdC+1], s[sgprSrdC+1], 0        // incToNextRow: gra SRD += inc(upper)
_buffer_load_b32 v12, v11, s[sgprSrdC:sgprSrdC+3], 0, offen offset:0 // load C for beta calc
_buffer_load_b32 v13, v11, s[sgprSrdC:sgprSrdC+3], 0, offen offset:256 // load C for beta calc
s_lshl_b32  s54, s[sgprStrideC1J], 1               // incToNextRow: Scale by BPE
s_add_u32  s[sgprSrdC+0], s[sgprSrdC+0], s54       // incToNextRow: gra SRD += inc(lower)
s_addc_u32  s[sgprSrdC+1], s[sgprSrdC+1], 0        // incToNextRow: gra SRD += inc(upper)
_buffer_load_b32 v18, v11, s[sgprSrdC:sgprSrdC+3], 0, offen offset:0 // load C for beta calc
_buffer_load_b32 v19, v11, s[sgprSrdC:sgprSrdC+3], 0, offen offset:256 // load C for beta calc
s_lshl_b32  s54, s[sgprStrideC1J], 1               // incToNextRow: Scale by BPE
	;; [unrolled: 5-line block ×3, first 2 shown]
s_add_u32  s[sgprSrdC+0], s[sgprSrdC+0], s54       // incToNextRow: gra SRD += inc(lower)
s_addc_u32  s[sgprSrdC+1], s[sgprSrdC+1], 0        // incToNextRow: gra SRD += inc(upper)
_buffer_load_b32 v30, v11, s[sgprSrdC:sgprSrdC+3], 0, offen offset:0 // load C for beta calc
_buffer_load_b32 v31, v11, s[sgprSrdC:sgprSrdC+3], 0, offen offset:256 // load C for beta calc
s_mul_i32 s54, s[sgprStrideC1J], 10                // scale StrideC *= numRows(5) * bpe
s_add_u32  s[sgprSrdC+0], s[sgprSrdC+0], s54       // incToNextRow: gra SRD += inc(lower)
s_addc_u32  s[sgprSrdC+1], s[sgprSrdC+1], 0        // incToNextRow: gra SRD += inc(upper)
_buffer_load_b32 v36, v11, s[sgprSrdC:sgprSrdC+3], 0, offen offset:0 // load C for beta calc
_buffer_load_b32 v37, v11, s[sgprSrdC:sgprSrdC+3], 0, offen offset:256 // load C for beta calc
s_lshl_b32  s54, s[sgprStrideC1J], 1               // incToNextRow: Scale by BPE
s_add_u32  s[sgprSrdC+0], s[sgprSrdC+0], s54       // incToNextRow: gra SRD += inc(lower)
s_addc_u32  s[sgprSrdC+1], s[sgprSrdC+1], 0        // incToNextRow: gra SRD += inc(upper)
_buffer_load_b32 v42, v11, s[sgprSrdC:sgprSrdC+3], 0, offen offset:0 // load C for beta calc
_buffer_load_b32 v43, v11, s[sgprSrdC:sgprSrdC+3], 0, offen offset:256 // load C for beta calc
s_lshl_b32  s54, s[sgprStrideC1J], 1               // incToNextRow: Scale by BPE
	;; [unrolled: 5-line block ×3, first 2 shown]
s_add_u32  s[sgprSrdC+0], s[sgprSrdC+0], s54       // incToNextRow: gra SRD += inc(lower)
s_addc_u32  s[sgprSrdC+1], s[sgprSrdC+1], 0        // incToNextRow: gra SRD += inc(upper)
_buffer_load_b32 v54, v11, s[sgprSrdC:sgprSrdC+3], 0, offen offset:0 // load C for beta calc
_buffer_load_b32 v55, v11, s[sgprSrdC:sgprSrdC+3], 0, offen offset:256 // load C for beta calc
s_sleep 3 // optimization: sync and wait
s_barrier
v_accvgpr_read_b32 v[vgprValuC+14], acc128 // copy acc to vreg[128]
v_accvgpr_read_b32 v[vgprValuC+15], acc144 // copy acc to vreg[129]
v_accvgpr_read_b32 v[vgprValuC+16], acc160 // copy acc to vreg[130]
v_accvgpr_read_b32 v[vgprValuC+17], acc176 // copy acc to vreg[131]
v_accvgpr_read_b32 v[vgprValuC+20], acc129 // copy acc to vreg[132]
v_accvgpr_read_b32 v[vgprValuC+21], acc145 // copy acc to vreg[133]
v_accvgpr_read_b32 v[vgprValuC+22], acc161 // copy acc to vreg[134]
v_accvgpr_read_b32 v[vgprValuC+23], acc177 // copy acc to vreg[135]
v_accvgpr_read_b32 v[vgprValuC+26], acc130 // copy acc to vreg[136]
v_accvgpr_read_b32 v[vgprValuC+27], acc146 // copy acc to vreg[137]
v_accvgpr_read_b32 v[vgprValuC+28], acc162 // copy acc to vreg[138]
v_accvgpr_read_b32 v[vgprValuC+29], acc178 // copy acc to vreg[139]
v_accvgpr_read_b32 v[vgprValuC+32], acc131 // copy acc to vreg[140]
v_accvgpr_read_b32 v[vgprValuC+33], acc147 // copy acc to vreg[141]
v_accvgpr_read_b32 v[vgprValuC+34], acc163 // copy acc to vreg[142]
v_accvgpr_read_b32 v[vgprValuC+35], acc179 // copy acc to vreg[143]
v_accvgpr_read_b32 v[vgprValuC+38], acc132 // copy acc to vreg[144]
v_accvgpr_read_b32 v[vgprValuC+39], acc148 // copy acc to vreg[145]
v_accvgpr_read_b32 v[vgprValuC+40], acc164 // copy acc to vreg[146]
v_accvgpr_read_b32 v[vgprValuC+41], acc180 // copy acc to vreg[147]
v_accvgpr_read_b32 v[vgprValuC+44], acc133 // copy acc to vreg[148]
v_accvgpr_read_b32 v[vgprValuC+45], acc149 // copy acc to vreg[149]
v_accvgpr_read_b32 v[vgprValuC+46], acc165 // copy acc to vreg[150]
v_accvgpr_read_b32 v[vgprValuC+47], acc181 // copy acc to vreg[151]
v_accvgpr_read_b32 v[vgprValuC+50], acc134 // copy acc to vreg[152]
v_accvgpr_read_b32 v[vgprValuC+51], acc150 // copy acc to vreg[153]
v_accvgpr_read_b32 v[vgprValuC+52], acc166 // copy acc to vreg[154]
v_accvgpr_read_b32 v[vgprValuC+53], acc182 // copy acc to vreg[155]
v_accvgpr_read_b32 v[vgprValuC+56], acc135 // copy acc to vreg[156]
v_accvgpr_read_b32 v[vgprValuC+57], acc151 // copy acc to vreg[157]
v_accvgpr_read_b32 v[vgprValuC+58], acc167 // copy acc to vreg[158]
v_accvgpr_read_b32 v[vgprValuC+59], acc183 // copy acc to vreg[159]
s_nop 1                                            // 2 wait states required before reading vgpr

/* rC *= alpha batchElements=[(8, 0, 0, 0), (8, 1, 0, 0), (8, 0, 1, 0), (8, 1, 1, 0), (8, 0, 2, 0), (8, 1, 2, 0), (8, 0, 3, 0), (8, 1, 3, 0), (9, 0, 0, 0), (9, 1, 0, 0), (9, 0, 1, 0), (9, 1, 1, 0), (9, 0, 2, 0), (9, 1, 2, 0), (9, 0, 3, 0), (9, 1, 3, 0)] */
v_mul_f32 v[vgprValuC+14], s[sgprAlpha], v[vgprValuC+14] // *= alpha
v_mul_f32 v[vgprValuC+15], s[sgprAlpha], v[vgprValuC+15] // *= alpha
	;; [unrolled: 1-line block ×32, first 2 shown]
s_waitcnt vmcnt(0)                                 // wait C

/* apply mask, calc new C and issue writes */
v_mov_b32 v7, 0xffff0000                           // mask for pack two bfloat16 element to 32bit
v_mov_b32 v8, 0x7fff0000                           // fp32 Nan
v_mov_b32 v9, 0x7fff                               // rounding bias for bfloat16
v_lshlrev_b32 v4, 16, v12                          // convert bf16 to fp32
_v_mac_f32 v[vgprValuC+14], v4, s[sgprBeta]        // finalSum = sum*alpha + C*beta
v_and_b32 v4, v12, v7                              // convert bf16 to fp32
_v_mac_f32 v[vgprValuC+15], v4, s[sgprBeta]        // finalSum = sum*alpha + C*beta
v_cmp_u_f32 s[54:55], v[vgprValuC+14], v[vgprValuC+14] // check Nan
v_bfe_u32 v6, v[vgprValuC+14], 16, 1               // Non-Nan case: store lsb of bf16
v_add3_u32 v6, v[vgprValuC+14], v6, v9             // Non-Nan case: add lsb and the increment for rounding
v_cndmask_b32 v[vgprValuC+14], v6, v8, s[54:55]    // 
v_lshrrev_b32 v[vgprValuC+14], 16, v[vgprValuC+14] // convert C to bf16
v_cmp_u_f32 s[54:55], v[vgprValuC+15], v[vgprValuC+15] // check Nan
v_bfe_u32 v6, v[vgprValuC+15], 16, 1               // Non-Nan case: store lsb of bf16
v_add3_u32 v6, v[vgprValuC+15], v6, v9             // Non-Nan case: add lsb and the increment for rounding
v_cndmask_b32 v[vgprValuC+15], v6, v8, s[54:55]    // 
v_and_or_b32 v14, v[vgprValuC+15], v7, v[vgprValuC+14] // pack two bf16 to dword
v_lshlrev_b32 v4, 16, v13                          // convert bf16 to fp32
_v_mac_f32 v[vgprValuC+16], v4, s[sgprBeta]        // finalSum = sum*alpha + C*beta
v_and_b32 v4, v13, v7                              // convert bf16 to fp32
_v_mac_f32 v[vgprValuC+17], v4, s[sgprBeta]        // finalSum = sum*alpha + C*beta
v_cmp_u_f32 s[54:55], v[vgprValuC+16], v[vgprValuC+16] // check Nan
v_bfe_u32 v6, v[vgprValuC+16], 16, 1               // Non-Nan case: store lsb of bf16
v_add3_u32 v6, v[vgprValuC+16], v6, v9             // Non-Nan case: add lsb and the increment for rounding
v_cndmask_b32 v[vgprValuC+16], v6, v8, s[54:55]    // 
v_lshrrev_b32 v[vgprValuC+16], 16, v[vgprValuC+16] // convert C to bf16
v_cmp_u_f32 s[54:55], v[vgprValuC+17], v[vgprValuC+17] // check Nan
v_bfe_u32 v6, v[vgprValuC+17], 16, 1               // Non-Nan case: store lsb of bf16
v_add3_u32 v6, v[vgprValuC+17], v6, v9             // Non-Nan case: add lsb and the increment for rounding
v_cndmask_b32 v[vgprValuC+17], v6, v8, s[54:55]    // 
v_and_or_b32 v16, v[vgprValuC+17], v7, v[vgprValuC+16] // pack two bf16 to dword
	;; [unrolled: 14-line block ×16, first 2 shown]
s_mul_i32 s54, s[sgprStrideD1J], 74                // scale StrideD *= numRows(37) * bpe
s_add_u32  s[sgprSrdD+0], s[sgprSrdD+0], s54       // incToNextRow: gra SRD += inc(lower)
s_addc_u32  s[sgprSrdD+1], s[sgprSrdD+1], 0        // incToNextRow: gra SRD += inc(upper)
_buffer_store_b32 v14, v10, s[sgprSrdD:sgprSrdD+3], 0, offen, offset:0 // store D
_buffer_store_b32 v16, v10, s[sgprSrdD:sgprSrdD+3], 0, offen, offset:256 // store D
s_lshl_b32  s54, s[sgprStrideD1J], 1               // incToNextRow: Scale by BPE
s_add_u32  s[sgprSrdD+0], s[sgprSrdD+0], s54       // incToNextRow: gra SRD += inc(lower)
s_addc_u32  s[sgprSrdD+1], s[sgprSrdD+1], 0        // incToNextRow: gra SRD += inc(upper)
_buffer_store_b32 v20, v10, s[sgprSrdD:sgprSrdD+3], 0, offen, offset:0 // store D
_buffer_store_b32 v22, v10, s[sgprSrdD:sgprSrdD+3], 0, offen, offset:256 // store D
s_lshl_b32  s54, s[sgprStrideD1J], 1               // incToNextRow: Scale by BPE
	;; [unrolled: 5-line block ×3, first 2 shown]
s_add_u32  s[sgprSrdD+0], s[sgprSrdD+0], s54       // incToNextRow: gra SRD += inc(lower)
s_addc_u32  s[sgprSrdD+1], s[sgprSrdD+1], 0        // incToNextRow: gra SRD += inc(upper)
_buffer_store_b32 v32, v10, s[sgprSrdD:sgprSrdD+3], 0, offen, offset:0 // store D
_buffer_store_b32 v34, v10, s[sgprSrdD:sgprSrdD+3], 0, offen, offset:256 // store D
s_mul_i32 s54, s[sgprStrideD1J], 10                // scale StrideD *= numRows(5) * bpe
s_add_u32  s[sgprSrdD+0], s[sgprSrdD+0], s54       // incToNextRow: gra SRD += inc(lower)
s_addc_u32  s[sgprSrdD+1], s[sgprSrdD+1], 0        // incToNextRow: gra SRD += inc(upper)
_buffer_store_b32 v38, v10, s[sgprSrdD:sgprSrdD+3], 0, offen, offset:0 // store D
_buffer_store_b32 v40, v10, s[sgprSrdD:sgprSrdD+3], 0, offen, offset:256 // store D
s_lshl_b32  s54, s[sgprStrideD1J], 1               // incToNextRow: Scale by BPE
s_add_u32  s[sgprSrdD+0], s[sgprSrdD+0], s54       // incToNextRow: gra SRD += inc(lower)
s_addc_u32  s[sgprSrdD+1], s[sgprSrdD+1], 0        // incToNextRow: gra SRD += inc(upper)
_buffer_store_b32 v44, v10, s[sgprSrdD:sgprSrdD+3], 0, offen, offset:0 // store D
_buffer_store_b32 v46, v10, s[sgprSrdD:sgprSrdD+3], 0, offen, offset:256 // store D
s_lshl_b32  s54, s[sgprStrideD1J], 1               // incToNextRow: Scale by BPE
	;; [unrolled: 5-line block ×3, first 2 shown]
s_add_u32  s[sgprSrdD+0], s[sgprSrdD+0], s54       // incToNextRow: gra SRD += inc(lower)
s_addc_u32  s[sgprSrdD+1], s[sgprSrdD+1], 0        // incToNextRow: gra SRD += inc(upper)
_buffer_store_b32 v56, v10, s[sgprSrdD:sgprSrdD+3], 0, offen, offset:0 // store D
_buffer_store_b32 v58, v10, s[sgprSrdD:sgprSrdD+3], 0, offen, offset:256 // store D
s_nop 0                                            // 1 wait state required when next inst writes vgprs held by previous dwordx4 store inst
/* optSingleColVgpr=1 optSharedColVgpr=0 optSGPRUsage=BufferLoad_Mask optSrdIncForRow=1 */
s_sleep 3 // optimization: sync and wait
s_barrier

/******************************************/
/* Global Write Alpha Beta Batch #5 (d1,d0,vc1,vc0) = */
/*    (10,0,0,0:vw2); (10,1,0,0:vw2); (10,0,1,0:vw2); (10,1,1,0:vw2); (10,0,2,0:vw2); (10,1,2,0:vw2); (10,0,3,0:vw2); (10,1,3,0:vw2); (11,0,0,0:vw2); (11,1,0,0:vw2); (11,0,1,0:vw2); (11,1,1,0:vw2); (11,0,2,0:vw2); (11,1,2,0:vw2); (11,0,3,0:vw2); (11,1,3,0:vw2) */
/******************************************/

/* calc coords, apply mask, and issue loads (if necessary) */
/* (d1,vc1,d0,vc0)=(10,0,0,0) */
/* (d1,vc1,d0,vc0)=(10,0,1,0) */
	;; [unrolled: 1-line block ×16, first 2 shown]
s_mul_i32 s54, s[sgprStrideC1J], 10                // scale StrideC *= numRows(5) * bpe
s_add_u32  s[sgprSrdC+0], s[sgprSrdC+0], s54       // incToNextRow: gra SRD += inc(lower)
s_addc_u32  s[sgprSrdC+1], s[sgprSrdC+1], 0        // incToNextRow: gra SRD += inc(upper)
_buffer_load_b32 v12, v11, s[sgprSrdC:sgprSrdC+3], 0, offen offset:0 // load C for beta calc
_buffer_load_b32 v13, v11, s[sgprSrdC:sgprSrdC+3], 0, offen offset:256 // load C for beta calc
s_lshl_b32  s54, s[sgprStrideC1J], 1               // incToNextRow: Scale by BPE
s_add_u32  s[sgprSrdC+0], s[sgprSrdC+0], s54       // incToNextRow: gra SRD += inc(lower)
s_addc_u32  s[sgprSrdC+1], s[sgprSrdC+1], 0        // incToNextRow: gra SRD += inc(upper)
_buffer_load_b32 v18, v11, s[sgprSrdC:sgprSrdC+3], 0, offen offset:0 // load C for beta calc
_buffer_load_b32 v19, v11, s[sgprSrdC:sgprSrdC+3], 0, offen offset:256 // load C for beta calc
s_lshl_b32  s54, s[sgprStrideC1J], 1               // incToNextRow: Scale by BPE
	;; [unrolled: 5-line block ×3, first 2 shown]
s_add_u32  s[sgprSrdC+0], s[sgprSrdC+0], s54       // incToNextRow: gra SRD += inc(lower)
s_addc_u32  s[sgprSrdC+1], s[sgprSrdC+1], 0        // incToNextRow: gra SRD += inc(upper)
_buffer_load_b32 v30, v11, s[sgprSrdC:sgprSrdC+3], 0, offen offset:0 // load C for beta calc
_buffer_load_b32 v31, v11, s[sgprSrdC:sgprSrdC+3], 0, offen offset:256 // load C for beta calc
s_mul_i32 s54, s[sgprStrideC1J], 10                // scale StrideC *= numRows(5) * bpe
s_add_u32  s[sgprSrdC+0], s[sgprSrdC+0], s54       // incToNextRow: gra SRD += inc(lower)
s_addc_u32  s[sgprSrdC+1], s[sgprSrdC+1], 0        // incToNextRow: gra SRD += inc(upper)
_buffer_load_b32 v36, v11, s[sgprSrdC:sgprSrdC+3], 0, offen offset:0 // load C for beta calc
_buffer_load_b32 v37, v11, s[sgprSrdC:sgprSrdC+3], 0, offen offset:256 // load C for beta calc
s_lshl_b32  s54, s[sgprStrideC1J], 1               // incToNextRow: Scale by BPE
s_add_u32  s[sgprSrdC+0], s[sgprSrdC+0], s54       // incToNextRow: gra SRD += inc(lower)
s_addc_u32  s[sgprSrdC+1], s[sgprSrdC+1], 0        // incToNextRow: gra SRD += inc(upper)
_buffer_load_b32 v42, v11, s[sgprSrdC:sgprSrdC+3], 0, offen offset:0 // load C for beta calc
_buffer_load_b32 v43, v11, s[sgprSrdC:sgprSrdC+3], 0, offen offset:256 // load C for beta calc
s_lshl_b32  s54, s[sgprStrideC1J], 1               // incToNextRow: Scale by BPE
	;; [unrolled: 5-line block ×3, first 2 shown]
s_add_u32  s[sgprSrdC+0], s[sgprSrdC+0], s54       // incToNextRow: gra SRD += inc(lower)
s_addc_u32  s[sgprSrdC+1], s[sgprSrdC+1], 0        // incToNextRow: gra SRD += inc(upper)
_buffer_load_b32 v54, v11, s[sgprSrdC:sgprSrdC+3], 0, offen offset:0 // load C for beta calc
_buffer_load_b32 v55, v11, s[sgprSrdC:sgprSrdC+3], 0, offen offset:256 // load C for beta calc
s_sleep 3 // optimization: sync and wait
s_barrier
v_accvgpr_read_b32 v[vgprValuC+14], acc136 // copy acc to vreg[160]
v_accvgpr_read_b32 v[vgprValuC+15], acc152 // copy acc to vreg[161]
v_accvgpr_read_b32 v[vgprValuC+16], acc168 // copy acc to vreg[162]
v_accvgpr_read_b32 v[vgprValuC+17], acc184 // copy acc to vreg[163]
v_accvgpr_read_b32 v[vgprValuC+20], acc137 // copy acc to vreg[164]
v_accvgpr_read_b32 v[vgprValuC+21], acc153 // copy acc to vreg[165]
v_accvgpr_read_b32 v[vgprValuC+22], acc169 // copy acc to vreg[166]
v_accvgpr_read_b32 v[vgprValuC+23], acc185 // copy acc to vreg[167]
v_accvgpr_read_b32 v[vgprValuC+26], acc138 // copy acc to vreg[168]
v_accvgpr_read_b32 v[vgprValuC+27], acc154 // copy acc to vreg[169]
v_accvgpr_read_b32 v[vgprValuC+28], acc170 // copy acc to vreg[170]
v_accvgpr_read_b32 v[vgprValuC+29], acc186 // copy acc to vreg[171]
v_accvgpr_read_b32 v[vgprValuC+32], acc139 // copy acc to vreg[172]
v_accvgpr_read_b32 v[vgprValuC+33], acc155 // copy acc to vreg[173]
v_accvgpr_read_b32 v[vgprValuC+34], acc171 // copy acc to vreg[174]
v_accvgpr_read_b32 v[vgprValuC+35], acc187 // copy acc to vreg[175]
v_accvgpr_read_b32 v[vgprValuC+38], acc140 // copy acc to vreg[176]
v_accvgpr_read_b32 v[vgprValuC+39], acc156 // copy acc to vreg[177]
v_accvgpr_read_b32 v[vgprValuC+40], acc172 // copy acc to vreg[178]
v_accvgpr_read_b32 v[vgprValuC+41], acc188 // copy acc to vreg[179]
v_accvgpr_read_b32 v[vgprValuC+44], acc141 // copy acc to vreg[180]
v_accvgpr_read_b32 v[vgprValuC+45], acc157 // copy acc to vreg[181]
v_accvgpr_read_b32 v[vgprValuC+46], acc173 // copy acc to vreg[182]
v_accvgpr_read_b32 v[vgprValuC+47], acc189 // copy acc to vreg[183]
v_accvgpr_read_b32 v[vgprValuC+50], acc142 // copy acc to vreg[184]
v_accvgpr_read_b32 v[vgprValuC+51], acc158 // copy acc to vreg[185]
v_accvgpr_read_b32 v[vgprValuC+52], acc174 // copy acc to vreg[186]
v_accvgpr_read_b32 v[vgprValuC+53], acc190 // copy acc to vreg[187]
v_accvgpr_read_b32 v[vgprValuC+56], acc143 // copy acc to vreg[188]
v_accvgpr_read_b32 v[vgprValuC+57], acc159 // copy acc to vreg[189]
v_accvgpr_read_b32 v[vgprValuC+58], acc175 // copy acc to vreg[190]
v_accvgpr_read_b32 v[vgprValuC+59], acc191 // copy acc to vreg[191]
s_nop 1                                            // 2 wait states required before reading vgpr

/* rC *= alpha batchElements=[(10, 0, 0, 0), (10, 1, 0, 0), (10, 0, 1, 0), (10, 1, 1, 0), (10, 0, 2, 0), (10, 1, 2, 0), (10, 0, 3, 0), (10, 1, 3, 0), (11, 0, 0, 0), (11, 1, 0, 0), (11, 0, 1, 0), (11, 1, 1, 0), (11, 0, 2, 0), (11, 1, 2, 0), (11, 0, 3, 0), (11, 1, 3, 0)] */
v_mul_f32 v[vgprValuC+14], s[sgprAlpha], v[vgprValuC+14] // *= alpha
v_mul_f32 v[vgprValuC+15], s[sgprAlpha], v[vgprValuC+15] // *= alpha
	;; [unrolled: 1-line block ×32, first 2 shown]
s_waitcnt vmcnt(0)                                 // wait C

/* apply mask, calc new C and issue writes */
v_mov_b32 v7, 0xffff0000                           // mask for pack two bfloat16 element to 32bit
v_mov_b32 v8, 0x7fff0000                           // fp32 Nan
v_mov_b32 v9, 0x7fff                               // rounding bias for bfloat16
v_lshlrev_b32 v4, 16, v12                          // convert bf16 to fp32
_v_mac_f32 v[vgprValuC+14], v4, s[sgprBeta]        // finalSum = sum*alpha + C*beta
v_and_b32 v4, v12, v7                              // convert bf16 to fp32
_v_mac_f32 v[vgprValuC+15], v4, s[sgprBeta]        // finalSum = sum*alpha + C*beta
v_cmp_u_f32 s[54:55], v[vgprValuC+14], v[vgprValuC+14] // check Nan
v_bfe_u32 v6, v[vgprValuC+14], 16, 1               // Non-Nan case: store lsb of bf16
v_add3_u32 v6, v[vgprValuC+14], v6, v9             // Non-Nan case: add lsb and the increment for rounding
v_cndmask_b32 v[vgprValuC+14], v6, v8, s[54:55]    // 
v_lshrrev_b32 v[vgprValuC+14], 16, v[vgprValuC+14] // convert C to bf16
v_cmp_u_f32 s[54:55], v[vgprValuC+15], v[vgprValuC+15] // check Nan
v_bfe_u32 v6, v[vgprValuC+15], 16, 1               // Non-Nan case: store lsb of bf16
v_add3_u32 v6, v[vgprValuC+15], v6, v9             // Non-Nan case: add lsb and the increment for rounding
v_cndmask_b32 v[vgprValuC+15], v6, v8, s[54:55]    // 
v_and_or_b32 v14, v[vgprValuC+15], v7, v[vgprValuC+14] // pack two bf16 to dword
v_lshlrev_b32 v4, 16, v13                          // convert bf16 to fp32
_v_mac_f32 v[vgprValuC+16], v4, s[sgprBeta]        // finalSum = sum*alpha + C*beta
v_and_b32 v4, v13, v7                              // convert bf16 to fp32
_v_mac_f32 v[vgprValuC+17], v4, s[sgprBeta]        // finalSum = sum*alpha + C*beta
v_cmp_u_f32 s[54:55], v[vgprValuC+16], v[vgprValuC+16] // check Nan
v_bfe_u32 v6, v[vgprValuC+16], 16, 1               // Non-Nan case: store lsb of bf16
v_add3_u32 v6, v[vgprValuC+16], v6, v9             // Non-Nan case: add lsb and the increment for rounding
v_cndmask_b32 v[vgprValuC+16], v6, v8, s[54:55]    // 
v_lshrrev_b32 v[vgprValuC+16], 16, v[vgprValuC+16] // convert C to bf16
v_cmp_u_f32 s[54:55], v[vgprValuC+17], v[vgprValuC+17] // check Nan
v_bfe_u32 v6, v[vgprValuC+17], 16, 1               // Non-Nan case: store lsb of bf16
v_add3_u32 v6, v[vgprValuC+17], v6, v9             // Non-Nan case: add lsb and the increment for rounding
v_cndmask_b32 v[vgprValuC+17], v6, v8, s[54:55]    // 
v_and_or_b32 v16, v[vgprValuC+17], v7, v[vgprValuC+16] // pack two bf16 to dword
	;; [unrolled: 14-line block ×16, first 2 shown]
s_mul_i32 s54, s[sgprStrideD1J], 10                // scale StrideD *= numRows(5) * bpe
s_add_u32  s[sgprSrdD+0], s[sgprSrdD+0], s54       // incToNextRow: gra SRD += inc(lower)
s_addc_u32  s[sgprSrdD+1], s[sgprSrdD+1], 0        // incToNextRow: gra SRD += inc(upper)
_buffer_store_b32 v14, v10, s[sgprSrdD:sgprSrdD+3], 0, offen, offset:0 // store D
_buffer_store_b32 v16, v10, s[sgprSrdD:sgprSrdD+3], 0, offen, offset:256 // store D
s_lshl_b32  s54, s[sgprStrideD1J], 1               // incToNextRow: Scale by BPE
s_add_u32  s[sgprSrdD+0], s[sgprSrdD+0], s54       // incToNextRow: gra SRD += inc(lower)
s_addc_u32  s[sgprSrdD+1], s[sgprSrdD+1], 0        // incToNextRow: gra SRD += inc(upper)
_buffer_store_b32 v20, v10, s[sgprSrdD:sgprSrdD+3], 0, offen, offset:0 // store D
_buffer_store_b32 v22, v10, s[sgprSrdD:sgprSrdD+3], 0, offen, offset:256 // store D
s_lshl_b32  s54, s[sgprStrideD1J], 1               // incToNextRow: Scale by BPE
	;; [unrolled: 5-line block ×3, first 2 shown]
s_add_u32  s[sgprSrdD+0], s[sgprSrdD+0], s54       // incToNextRow: gra SRD += inc(lower)
s_addc_u32  s[sgprSrdD+1], s[sgprSrdD+1], 0        // incToNextRow: gra SRD += inc(upper)
_buffer_store_b32 v32, v10, s[sgprSrdD:sgprSrdD+3], 0, offen, offset:0 // store D
_buffer_store_b32 v34, v10, s[sgprSrdD:sgprSrdD+3], 0, offen, offset:256 // store D
s_mul_i32 s54, s[sgprStrideD1J], 10                // scale StrideD *= numRows(5) * bpe
s_add_u32  s[sgprSrdD+0], s[sgprSrdD+0], s54       // incToNextRow: gra SRD += inc(lower)
s_addc_u32  s[sgprSrdD+1], s[sgprSrdD+1], 0        // incToNextRow: gra SRD += inc(upper)
_buffer_store_b32 v38, v10, s[sgprSrdD:sgprSrdD+3], 0, offen, offset:0 // store D
_buffer_store_b32 v40, v10, s[sgprSrdD:sgprSrdD+3], 0, offen, offset:256 // store D
s_lshl_b32  s54, s[sgprStrideD1J], 1               // incToNextRow: Scale by BPE
s_add_u32  s[sgprSrdD+0], s[sgprSrdD+0], s54       // incToNextRow: gra SRD += inc(lower)
s_addc_u32  s[sgprSrdD+1], s[sgprSrdD+1], 0        // incToNextRow: gra SRD += inc(upper)
_buffer_store_b32 v44, v10, s[sgprSrdD:sgprSrdD+3], 0, offen, offset:0 // store D
_buffer_store_b32 v46, v10, s[sgprSrdD:sgprSrdD+3], 0, offen, offset:256 // store D
s_lshl_b32  s54, s[sgprStrideD1J], 1               // incToNextRow: Scale by BPE
	;; [unrolled: 5-line block ×3, first 2 shown]
s_add_u32  s[sgprSrdD+0], s[sgprSrdD+0], s54       // incToNextRow: gra SRD += inc(lower)
s_addc_u32  s[sgprSrdD+1], s[sgprSrdD+1], 0        // incToNextRow: gra SRD += inc(upper)
_buffer_store_b32 v56, v10, s[sgprSrdD:sgprSrdD+3], 0, offen, offset:0 // store D
_buffer_store_b32 v58, v10, s[sgprSrdD:sgprSrdD+3], 0, offen, offset:256 // store D
s_nop 0                                            // 1 wait state required when next inst writes vgprs held by previous dwordx4 store inst
/* optSingleColVgpr=1 optSharedColVgpr=0 optSGPRUsage=BufferLoad_Mask optSrdIncForRow=1 */
s_sleep 3 // optimization: sync and wait
s_barrier

/******************************************/
/* Global Write Alpha Beta Batch #6 (d1,d0,vc1,vc0) = */
/*    (12,0,0,0:vw2); (12,1,0,0:vw2); (12,0,1,0:vw2); (12,1,1,0:vw2); (12,0,2,0:vw2); (12,1,2,0:vw2); (12,0,3,0:vw2); (12,1,3,0:vw2); (13,0,0,0:vw2); (13,1,0,0:vw2); (13,0,1,0:vw2); (13,1,1,0:vw2); (13,0,2,0:vw2); (13,1,2,0:vw2); (13,0,3,0:vw2); (13,1,3,0:vw2) */
/******************************************/

/* calc coords, apply mask, and issue loads (if necessary) */
/* (d1,vc1,d0,vc0)=(12,0,0,0) */
/* (d1,vc1,d0,vc0)=(12,0,1,0) */
	;; [unrolled: 1-line block ×16, first 2 shown]
s_mul_i32 s54, s[sgprStrideC1J], 74                // scale StrideC *= numRows(37) * bpe
s_add_u32  s[sgprSrdC+0], s[sgprSrdC+0], s54       // incToNextRow: gra SRD += inc(lower)
s_addc_u32  s[sgprSrdC+1], s[sgprSrdC+1], 0        // incToNextRow: gra SRD += inc(upper)
_buffer_load_b32 v12, v11, s[sgprSrdC:sgprSrdC+3], 0, offen offset:0 // load C for beta calc
_buffer_load_b32 v13, v11, s[sgprSrdC:sgprSrdC+3], 0, offen offset:256 // load C for beta calc
s_lshl_b32  s54, s[sgprStrideC1J], 1               // incToNextRow: Scale by BPE
s_add_u32  s[sgprSrdC+0], s[sgprSrdC+0], s54       // incToNextRow: gra SRD += inc(lower)
s_addc_u32  s[sgprSrdC+1], s[sgprSrdC+1], 0        // incToNextRow: gra SRD += inc(upper)
_buffer_load_b32 v18, v11, s[sgprSrdC:sgprSrdC+3], 0, offen offset:0 // load C for beta calc
_buffer_load_b32 v19, v11, s[sgprSrdC:sgprSrdC+3], 0, offen offset:256 // load C for beta calc
s_lshl_b32  s54, s[sgprStrideC1J], 1               // incToNextRow: Scale by BPE
	;; [unrolled: 5-line block ×3, first 2 shown]
s_add_u32  s[sgprSrdC+0], s[sgprSrdC+0], s54       // incToNextRow: gra SRD += inc(lower)
s_addc_u32  s[sgprSrdC+1], s[sgprSrdC+1], 0        // incToNextRow: gra SRD += inc(upper)
_buffer_load_b32 v30, v11, s[sgprSrdC:sgprSrdC+3], 0, offen offset:0 // load C for beta calc
_buffer_load_b32 v31, v11, s[sgprSrdC:sgprSrdC+3], 0, offen offset:256 // load C for beta calc
s_mul_i32 s54, s[sgprStrideC1J], 10                // scale StrideC *= numRows(5) * bpe
s_add_u32  s[sgprSrdC+0], s[sgprSrdC+0], s54       // incToNextRow: gra SRD += inc(lower)
s_addc_u32  s[sgprSrdC+1], s[sgprSrdC+1], 0        // incToNextRow: gra SRD += inc(upper)
_buffer_load_b32 v36, v11, s[sgprSrdC:sgprSrdC+3], 0, offen offset:0 // load C for beta calc
_buffer_load_b32 v37, v11, s[sgprSrdC:sgprSrdC+3], 0, offen offset:256 // load C for beta calc
s_lshl_b32  s54, s[sgprStrideC1J], 1               // incToNextRow: Scale by BPE
s_add_u32  s[sgprSrdC+0], s[sgprSrdC+0], s54       // incToNextRow: gra SRD += inc(lower)
s_addc_u32  s[sgprSrdC+1], s[sgprSrdC+1], 0        // incToNextRow: gra SRD += inc(upper)
_buffer_load_b32 v42, v11, s[sgprSrdC:sgprSrdC+3], 0, offen offset:0 // load C for beta calc
_buffer_load_b32 v43, v11, s[sgprSrdC:sgprSrdC+3], 0, offen offset:256 // load C for beta calc
s_lshl_b32  s54, s[sgprStrideC1J], 1               // incToNextRow: Scale by BPE
	;; [unrolled: 5-line block ×3, first 2 shown]
s_add_u32  s[sgprSrdC+0], s[sgprSrdC+0], s54       // incToNextRow: gra SRD += inc(lower)
s_addc_u32  s[sgprSrdC+1], s[sgprSrdC+1], 0        // incToNextRow: gra SRD += inc(upper)
_buffer_load_b32 v54, v11, s[sgprSrdC:sgprSrdC+3], 0, offen offset:0 // load C for beta calc
_buffer_load_b32 v55, v11, s[sgprSrdC:sgprSrdC+3], 0, offen offset:256 // load C for beta calc
s_sleep 3 // optimization: sync and wait
s_barrier
v_accvgpr_read_b32 v[vgprValuC+14], acc192 // copy acc to vreg[192]
v_accvgpr_read_b32 v[vgprValuC+15], acc208 // copy acc to vreg[193]
v_accvgpr_read_b32 v[vgprValuC+16], acc224 // copy acc to vreg[194]
v_accvgpr_read_b32 v[vgprValuC+17], acc240 // copy acc to vreg[195]
v_accvgpr_read_b32 v[vgprValuC+20], acc193 // copy acc to vreg[196]
v_accvgpr_read_b32 v[vgprValuC+21], acc209 // copy acc to vreg[197]
v_accvgpr_read_b32 v[vgprValuC+22], acc225 // copy acc to vreg[198]
v_accvgpr_read_b32 v[vgprValuC+23], acc241 // copy acc to vreg[199]
v_accvgpr_read_b32 v[vgprValuC+26], acc194 // copy acc to vreg[200]
v_accvgpr_read_b32 v[vgprValuC+27], acc210 // copy acc to vreg[201]
v_accvgpr_read_b32 v[vgprValuC+28], acc226 // copy acc to vreg[202]
v_accvgpr_read_b32 v[vgprValuC+29], acc242 // copy acc to vreg[203]
v_accvgpr_read_b32 v[vgprValuC+32], acc195 // copy acc to vreg[204]
v_accvgpr_read_b32 v[vgprValuC+33], acc211 // copy acc to vreg[205]
v_accvgpr_read_b32 v[vgprValuC+34], acc227 // copy acc to vreg[206]
v_accvgpr_read_b32 v[vgprValuC+35], acc243 // copy acc to vreg[207]
v_accvgpr_read_b32 v[vgprValuC+38], acc196 // copy acc to vreg[208]
v_accvgpr_read_b32 v[vgprValuC+39], acc212 // copy acc to vreg[209]
v_accvgpr_read_b32 v[vgprValuC+40], acc228 // copy acc to vreg[210]
v_accvgpr_read_b32 v[vgprValuC+41], acc244 // copy acc to vreg[211]
v_accvgpr_read_b32 v[vgprValuC+44], acc197 // copy acc to vreg[212]
v_accvgpr_read_b32 v[vgprValuC+45], acc213 // copy acc to vreg[213]
v_accvgpr_read_b32 v[vgprValuC+46], acc229 // copy acc to vreg[214]
v_accvgpr_read_b32 v[vgprValuC+47], acc245 // copy acc to vreg[215]
v_accvgpr_read_b32 v[vgprValuC+50], acc198 // copy acc to vreg[216]
v_accvgpr_read_b32 v[vgprValuC+51], acc214 // copy acc to vreg[217]
v_accvgpr_read_b32 v[vgprValuC+52], acc230 // copy acc to vreg[218]
v_accvgpr_read_b32 v[vgprValuC+53], acc246 // copy acc to vreg[219]
v_accvgpr_read_b32 v[vgprValuC+56], acc199 // copy acc to vreg[220]
v_accvgpr_read_b32 v[vgprValuC+57], acc215 // copy acc to vreg[221]
v_accvgpr_read_b32 v[vgprValuC+58], acc231 // copy acc to vreg[222]
v_accvgpr_read_b32 v[vgprValuC+59], acc247 // copy acc to vreg[223]
s_nop 1                                            // 2 wait states required before reading vgpr

/* rC *= alpha batchElements=[(12, 0, 0, 0), (12, 1, 0, 0), (12, 0, 1, 0), (12, 1, 1, 0), (12, 0, 2, 0), (12, 1, 2, 0), (12, 0, 3, 0), (12, 1, 3, 0), (13, 0, 0, 0), (13, 1, 0, 0), (13, 0, 1, 0), (13, 1, 1, 0), (13, 0, 2, 0), (13, 1, 2, 0), (13, 0, 3, 0), (13, 1, 3, 0)] */
v_mul_f32 v[vgprValuC+14], s[sgprAlpha], v[vgprValuC+14] // *= alpha
v_mul_f32 v[vgprValuC+15], s[sgprAlpha], v[vgprValuC+15] // *= alpha
	;; [unrolled: 1-line block ×32, first 2 shown]
s_waitcnt vmcnt(0)                                 // wait C

/* apply mask, calc new C and issue writes */
v_mov_b32 v7, 0xffff0000                           // mask for pack two bfloat16 element to 32bit
v_mov_b32 v8, 0x7fff0000                           // fp32 Nan
v_mov_b32 v9, 0x7fff                               // rounding bias for bfloat16
v_lshlrev_b32 v4, 16, v12                          // convert bf16 to fp32
_v_mac_f32 v[vgprValuC+14], v4, s[sgprBeta]        // finalSum = sum*alpha + C*beta
v_and_b32 v4, v12, v7                              // convert bf16 to fp32
_v_mac_f32 v[vgprValuC+15], v4, s[sgprBeta]        // finalSum = sum*alpha + C*beta
v_cmp_u_f32 s[54:55], v[vgprValuC+14], v[vgprValuC+14] // check Nan
v_bfe_u32 v6, v[vgprValuC+14], 16, 1               // Non-Nan case: store lsb of bf16
v_add3_u32 v6, v[vgprValuC+14], v6, v9             // Non-Nan case: add lsb and the increment for rounding
v_cndmask_b32 v[vgprValuC+14], v6, v8, s[54:55]    // 
v_lshrrev_b32 v[vgprValuC+14], 16, v[vgprValuC+14] // convert C to bf16
v_cmp_u_f32 s[54:55], v[vgprValuC+15], v[vgprValuC+15] // check Nan
v_bfe_u32 v6, v[vgprValuC+15], 16, 1               // Non-Nan case: store lsb of bf16
v_add3_u32 v6, v[vgprValuC+15], v6, v9             // Non-Nan case: add lsb and the increment for rounding
v_cndmask_b32 v[vgprValuC+15], v6, v8, s[54:55]    // 
v_and_or_b32 v14, v[vgprValuC+15], v7, v[vgprValuC+14] // pack two bf16 to dword
v_lshlrev_b32 v4, 16, v13                          // convert bf16 to fp32
_v_mac_f32 v[vgprValuC+16], v4, s[sgprBeta]        // finalSum = sum*alpha + C*beta
v_and_b32 v4, v13, v7                              // convert bf16 to fp32
_v_mac_f32 v[vgprValuC+17], v4, s[sgprBeta]        // finalSum = sum*alpha + C*beta
v_cmp_u_f32 s[54:55], v[vgprValuC+16], v[vgprValuC+16] // check Nan
v_bfe_u32 v6, v[vgprValuC+16], 16, 1               // Non-Nan case: store lsb of bf16
v_add3_u32 v6, v[vgprValuC+16], v6, v9             // Non-Nan case: add lsb and the increment for rounding
v_cndmask_b32 v[vgprValuC+16], v6, v8, s[54:55]    // 
v_lshrrev_b32 v[vgprValuC+16], 16, v[vgprValuC+16] // convert C to bf16
v_cmp_u_f32 s[54:55], v[vgprValuC+17], v[vgprValuC+17] // check Nan
v_bfe_u32 v6, v[vgprValuC+17], 16, 1               // Non-Nan case: store lsb of bf16
v_add3_u32 v6, v[vgprValuC+17], v6, v9             // Non-Nan case: add lsb and the increment for rounding
v_cndmask_b32 v[vgprValuC+17], v6, v8, s[54:55]    // 
v_and_or_b32 v16, v[vgprValuC+17], v7, v[vgprValuC+16] // pack two bf16 to dword
	;; [unrolled: 14-line block ×16, first 2 shown]
s_mul_i32 s54, s[sgprStrideD1J], 74                // scale StrideD *= numRows(37) * bpe
s_add_u32  s[sgprSrdD+0], s[sgprSrdD+0], s54       // incToNextRow: gra SRD += inc(lower)
s_addc_u32  s[sgprSrdD+1], s[sgprSrdD+1], 0        // incToNextRow: gra SRD += inc(upper)
_buffer_store_b32 v14, v10, s[sgprSrdD:sgprSrdD+3], 0, offen, offset:0 // store D
_buffer_store_b32 v16, v10, s[sgprSrdD:sgprSrdD+3], 0, offen, offset:256 // store D
s_lshl_b32  s54, s[sgprStrideD1J], 1               // incToNextRow: Scale by BPE
s_add_u32  s[sgprSrdD+0], s[sgprSrdD+0], s54       // incToNextRow: gra SRD += inc(lower)
s_addc_u32  s[sgprSrdD+1], s[sgprSrdD+1], 0        // incToNextRow: gra SRD += inc(upper)
_buffer_store_b32 v20, v10, s[sgprSrdD:sgprSrdD+3], 0, offen, offset:0 // store D
_buffer_store_b32 v22, v10, s[sgprSrdD:sgprSrdD+3], 0, offen, offset:256 // store D
s_lshl_b32  s54, s[sgprStrideD1J], 1               // incToNextRow: Scale by BPE
	;; [unrolled: 5-line block ×3, first 2 shown]
s_add_u32  s[sgprSrdD+0], s[sgprSrdD+0], s54       // incToNextRow: gra SRD += inc(lower)
s_addc_u32  s[sgprSrdD+1], s[sgprSrdD+1], 0        // incToNextRow: gra SRD += inc(upper)
_buffer_store_b32 v32, v10, s[sgprSrdD:sgprSrdD+3], 0, offen, offset:0 // store D
_buffer_store_b32 v34, v10, s[sgprSrdD:sgprSrdD+3], 0, offen, offset:256 // store D
s_mul_i32 s54, s[sgprStrideD1J], 10                // scale StrideD *= numRows(5) * bpe
s_add_u32  s[sgprSrdD+0], s[sgprSrdD+0], s54       // incToNextRow: gra SRD += inc(lower)
s_addc_u32  s[sgprSrdD+1], s[sgprSrdD+1], 0        // incToNextRow: gra SRD += inc(upper)
_buffer_store_b32 v38, v10, s[sgprSrdD:sgprSrdD+3], 0, offen, offset:0 // store D
_buffer_store_b32 v40, v10, s[sgprSrdD:sgprSrdD+3], 0, offen, offset:256 // store D
s_lshl_b32  s54, s[sgprStrideD1J], 1               // incToNextRow: Scale by BPE
s_add_u32  s[sgprSrdD+0], s[sgprSrdD+0], s54       // incToNextRow: gra SRD += inc(lower)
s_addc_u32  s[sgprSrdD+1], s[sgprSrdD+1], 0        // incToNextRow: gra SRD += inc(upper)
_buffer_store_b32 v44, v10, s[sgprSrdD:sgprSrdD+3], 0, offen, offset:0 // store D
_buffer_store_b32 v46, v10, s[sgprSrdD:sgprSrdD+3], 0, offen, offset:256 // store D
s_lshl_b32  s54, s[sgprStrideD1J], 1               // incToNextRow: Scale by BPE
	;; [unrolled: 5-line block ×3, first 2 shown]
s_add_u32  s[sgprSrdD+0], s[sgprSrdD+0], s54       // incToNextRow: gra SRD += inc(lower)
s_addc_u32  s[sgprSrdD+1], s[sgprSrdD+1], 0        // incToNextRow: gra SRD += inc(upper)
_buffer_store_b32 v56, v10, s[sgprSrdD:sgprSrdD+3], 0, offen, offset:0 // store D
_buffer_store_b32 v58, v10, s[sgprSrdD:sgprSrdD+3], 0, offen, offset:256 // store D
s_nop 0                                            // 1 wait state required when next inst writes vgprs held by previous dwordx4 store inst
/* optSingleColVgpr=1 optSharedColVgpr=0 optSGPRUsage=BufferLoad_Mask optSrdIncForRow=1 */
s_sleep 3 // optimization: sync and wait
s_barrier

/******************************************/
/* Global Write Alpha Beta Batch #7 (d1,d0,vc1,vc0) = */
/*    (14,0,0,0:vw2); (14,1,0,0:vw2); (14,0,1,0:vw2); (14,1,1,0:vw2); (14,0,2,0:vw2); (14,1,2,0:vw2); (14,0,3,0:vw2); (14,1,3,0:vw2); (15,0,0,0:vw2); (15,1,0,0:vw2); (15,0,1,0:vw2); (15,1,1,0:vw2); (15,0,2,0:vw2); (15,1,2,0:vw2); (15,0,3,0:vw2); (15,1,3,0:vw2) */
/******************************************/

/* calc coords, apply mask, and issue loads (if necessary) */
/* (d1,vc1,d0,vc0)=(14,0,0,0) */
/* (d1,vc1,d0,vc0)=(14,0,1,0) */
	;; [unrolled: 1-line block ×16, first 2 shown]
s_mul_i32 s54, s[sgprStrideC1J], 10                // scale StrideC *= numRows(5) * bpe
s_add_u32  s[sgprSrdC+0], s[sgprSrdC+0], s54       // incToNextRow: gra SRD += inc(lower)
s_addc_u32  s[sgprSrdC+1], s[sgprSrdC+1], 0        // incToNextRow: gra SRD += inc(upper)
_buffer_load_b32 v12, v11, s[sgprSrdC:sgprSrdC+3], 0, offen offset:0 // load C for beta calc
_buffer_load_b32 v13, v11, s[sgprSrdC:sgprSrdC+3], 0, offen offset:256 // load C for beta calc
s_lshl_b32  s54, s[sgprStrideC1J], 1               // incToNextRow: Scale by BPE
s_add_u32  s[sgprSrdC+0], s[sgprSrdC+0], s54       // incToNextRow: gra SRD += inc(lower)
s_addc_u32  s[sgprSrdC+1], s[sgprSrdC+1], 0        // incToNextRow: gra SRD += inc(upper)
_buffer_load_b32 v18, v11, s[sgprSrdC:sgprSrdC+3], 0, offen offset:0 // load C for beta calc
_buffer_load_b32 v19, v11, s[sgprSrdC:sgprSrdC+3], 0, offen offset:256 // load C for beta calc
s_lshl_b32  s54, s[sgprStrideC1J], 1               // incToNextRow: Scale by BPE
	;; [unrolled: 5-line block ×3, first 2 shown]
s_add_u32  s[sgprSrdC+0], s[sgprSrdC+0], s54       // incToNextRow: gra SRD += inc(lower)
s_addc_u32  s[sgprSrdC+1], s[sgprSrdC+1], 0        // incToNextRow: gra SRD += inc(upper)
_buffer_load_b32 v30, v11, s[sgprSrdC:sgprSrdC+3], 0, offen offset:0 // load C for beta calc
_buffer_load_b32 v31, v11, s[sgprSrdC:sgprSrdC+3], 0, offen offset:256 // load C for beta calc
s_mul_i32 s54, s[sgprStrideC1J], 10                // scale StrideC *= numRows(5) * bpe
s_add_u32  s[sgprSrdC+0], s[sgprSrdC+0], s54       // incToNextRow: gra SRD += inc(lower)
s_addc_u32  s[sgprSrdC+1], s[sgprSrdC+1], 0        // incToNextRow: gra SRD += inc(upper)
_buffer_load_b32 v36, v11, s[sgprSrdC:sgprSrdC+3], 0, offen offset:0 // load C for beta calc
_buffer_load_b32 v37, v11, s[sgprSrdC:sgprSrdC+3], 0, offen offset:256 // load C for beta calc
s_lshl_b32  s54, s[sgprStrideC1J], 1               // incToNextRow: Scale by BPE
s_add_u32  s[sgprSrdC+0], s[sgprSrdC+0], s54       // incToNextRow: gra SRD += inc(lower)
s_addc_u32  s[sgprSrdC+1], s[sgprSrdC+1], 0        // incToNextRow: gra SRD += inc(upper)
_buffer_load_b32 v42, v11, s[sgprSrdC:sgprSrdC+3], 0, offen offset:0 // load C for beta calc
_buffer_load_b32 v43, v11, s[sgprSrdC:sgprSrdC+3], 0, offen offset:256 // load C for beta calc
s_lshl_b32  s54, s[sgprStrideC1J], 1               // incToNextRow: Scale by BPE
	;; [unrolled: 5-line block ×3, first 2 shown]
s_add_u32  s[sgprSrdC+0], s[sgprSrdC+0], s54       // incToNextRow: gra SRD += inc(lower)
s_addc_u32  s[sgprSrdC+1], s[sgprSrdC+1], 0        // incToNextRow: gra SRD += inc(upper)
_buffer_load_b32 v54, v11, s[sgprSrdC:sgprSrdC+3], 0, offen offset:0 // load C for beta calc
_buffer_load_b32 v55, v11, s[sgprSrdC:sgprSrdC+3], 0, offen offset:256 // load C for beta calc
s_sleep 3 // optimization: sync and wait
s_barrier
v_accvgpr_read_b32 v[vgprValuC+14], acc200 // copy acc to vreg[224]
v_accvgpr_read_b32 v[vgprValuC+15], acc216 // copy acc to vreg[225]
v_accvgpr_read_b32 v[vgprValuC+16], acc232 // copy acc to vreg[226]
v_accvgpr_read_b32 v[vgprValuC+17], acc248 // copy acc to vreg[227]
v_accvgpr_read_b32 v[vgprValuC+20], acc201 // copy acc to vreg[228]
v_accvgpr_read_b32 v[vgprValuC+21], acc217 // copy acc to vreg[229]
v_accvgpr_read_b32 v[vgprValuC+22], acc233 // copy acc to vreg[230]
v_accvgpr_read_b32 v[vgprValuC+23], acc249 // copy acc to vreg[231]
v_accvgpr_read_b32 v[vgprValuC+26], acc202 // copy acc to vreg[232]
v_accvgpr_read_b32 v[vgprValuC+27], acc218 // copy acc to vreg[233]
v_accvgpr_read_b32 v[vgprValuC+28], acc234 // copy acc to vreg[234]
v_accvgpr_read_b32 v[vgprValuC+29], acc250 // copy acc to vreg[235]
v_accvgpr_read_b32 v[vgprValuC+32], acc203 // copy acc to vreg[236]
v_accvgpr_read_b32 v[vgprValuC+33], acc219 // copy acc to vreg[237]
v_accvgpr_read_b32 v[vgprValuC+34], acc235 // copy acc to vreg[238]
v_accvgpr_read_b32 v[vgprValuC+35], acc251 // copy acc to vreg[239]
v_accvgpr_read_b32 v[vgprValuC+38], acc204 // copy acc to vreg[240]
v_accvgpr_read_b32 v[vgprValuC+39], acc220 // copy acc to vreg[241]
v_accvgpr_read_b32 v[vgprValuC+40], acc236 // copy acc to vreg[242]
v_accvgpr_read_b32 v[vgprValuC+41], acc252 // copy acc to vreg[243]
v_accvgpr_read_b32 v[vgprValuC+44], acc205 // copy acc to vreg[244]
v_accvgpr_read_b32 v[vgprValuC+45], acc221 // copy acc to vreg[245]
v_accvgpr_read_b32 v[vgprValuC+46], acc237 // copy acc to vreg[246]
v_accvgpr_read_b32 v[vgprValuC+47], acc253 // copy acc to vreg[247]
v_accvgpr_read_b32 v[vgprValuC+50], acc206 // copy acc to vreg[248]
v_accvgpr_read_b32 v[vgprValuC+51], acc222 // copy acc to vreg[249]
v_accvgpr_read_b32 v[vgprValuC+52], acc238 // copy acc to vreg[250]
v_accvgpr_read_b32 v[vgprValuC+53], acc254 // copy acc to vreg[251]
v_accvgpr_read_b32 v[vgprValuC+56], acc207 // copy acc to vreg[252]
v_accvgpr_read_b32 v[vgprValuC+57], acc223 // copy acc to vreg[253]
v_accvgpr_read_b32 v[vgprValuC+58], acc239 // copy acc to vreg[254]
v_accvgpr_read_b32 v[vgprValuC+59], acc255 // copy acc to vreg[255]
s_nop 1                                            // 2 wait states required before reading vgpr

/* rC *= alpha batchElements=[(14, 0, 0, 0), (14, 1, 0, 0), (14, 0, 1, 0), (14, 1, 1, 0), (14, 0, 2, 0), (14, 1, 2, 0), (14, 0, 3, 0), (14, 1, 3, 0), (15, 0, 0, 0), (15, 1, 0, 0), (15, 0, 1, 0), (15, 1, 1, 0), (15, 0, 2, 0), (15, 1, 2, 0), (15, 0, 3, 0), (15, 1, 3, 0)] */
v_mul_f32 v[vgprValuC+14], s[sgprAlpha], v[vgprValuC+14] // *= alpha
v_mul_f32 v[vgprValuC+15], s[sgprAlpha], v[vgprValuC+15] // *= alpha
	;; [unrolled: 1-line block ×32, first 2 shown]
s_waitcnt vmcnt(0)                                 // wait C

/* apply mask, calc new C and issue writes */
v_mov_b32 v7, 0xffff0000                           // mask for pack two bfloat16 element to 32bit
v_mov_b32 v8, 0x7fff0000                           // fp32 Nan
v_mov_b32 v9, 0x7fff                               // rounding bias for bfloat16
v_lshlrev_b32 v4, 16, v12                          // convert bf16 to fp32
_v_mac_f32 v[vgprValuC+14], v4, s[sgprBeta]        // finalSum = sum*alpha + C*beta
v_and_b32 v4, v12, v7                              // convert bf16 to fp32
_v_mac_f32 v[vgprValuC+15], v4, s[sgprBeta]        // finalSum = sum*alpha + C*beta
v_cmp_u_f32 s[54:55], v[vgprValuC+14], v[vgprValuC+14] // check Nan
v_bfe_u32 v6, v[vgprValuC+14], 16, 1               // Non-Nan case: store lsb of bf16
v_add3_u32 v6, v[vgprValuC+14], v6, v9             // Non-Nan case: add lsb and the increment for rounding
v_cndmask_b32 v[vgprValuC+14], v6, v8, s[54:55]    // 
v_lshrrev_b32 v[vgprValuC+14], 16, v[vgprValuC+14] // convert C to bf16
v_cmp_u_f32 s[54:55], v[vgprValuC+15], v[vgprValuC+15] // check Nan
v_bfe_u32 v6, v[vgprValuC+15], 16, 1               // Non-Nan case: store lsb of bf16
v_add3_u32 v6, v[vgprValuC+15], v6, v9             // Non-Nan case: add lsb and the increment for rounding
v_cndmask_b32 v[vgprValuC+15], v6, v8, s[54:55]    // 
v_and_or_b32 v14, v[vgprValuC+15], v7, v[vgprValuC+14] // pack two bf16 to dword
v_lshlrev_b32 v4, 16, v13                          // convert bf16 to fp32
_v_mac_f32 v[vgprValuC+16], v4, s[sgprBeta]        // finalSum = sum*alpha + C*beta
v_and_b32 v4, v13, v7                              // convert bf16 to fp32
_v_mac_f32 v[vgprValuC+17], v4, s[sgprBeta]        // finalSum = sum*alpha + C*beta
v_cmp_u_f32 s[54:55], v[vgprValuC+16], v[vgprValuC+16] // check Nan
v_bfe_u32 v6, v[vgprValuC+16], 16, 1               // Non-Nan case: store lsb of bf16
v_add3_u32 v6, v[vgprValuC+16], v6, v9             // Non-Nan case: add lsb and the increment for rounding
v_cndmask_b32 v[vgprValuC+16], v6, v8, s[54:55]    // 
v_lshrrev_b32 v[vgprValuC+16], 16, v[vgprValuC+16] // convert C to bf16
v_cmp_u_f32 s[54:55], v[vgprValuC+17], v[vgprValuC+17] // check Nan
v_bfe_u32 v6, v[vgprValuC+17], 16, 1               // Non-Nan case: store lsb of bf16
v_add3_u32 v6, v[vgprValuC+17], v6, v9             // Non-Nan case: add lsb and the increment for rounding
v_cndmask_b32 v[vgprValuC+17], v6, v8, s[54:55]    // 
v_and_or_b32 v16, v[vgprValuC+17], v7, v[vgprValuC+16] // pack two bf16 to dword
v_lshlrev_b32 v4, 16, v18                          // convert bf16 to fp32
_v_mac_f32 v[vgprValuC+20], v4, s[sgprBeta]        // finalSum = sum*alpha + C*beta
v_and_b32 v4, v18, v7                              // convert bf16 to fp32
_v_mac_f32 v[vgprValuC+21], v4, s[sgprBeta]        // finalSum = sum*alpha + C*beta
v_cmp_u_f32 s[54:55], v[vgprValuC+20], v[vgprValuC+20] // check Nan
v_bfe_u32 v6, v[vgprValuC+20], 16, 1               // Non-Nan case: store lsb of bf16
v_add3_u32 v6, v[vgprValuC+20], v6, v9             // Non-Nan case: add lsb and the increment for rounding
v_cndmask_b32 v[vgprValuC+20], v6, v8, s[54:55]    // 
v_lshrrev_b32 v[vgprValuC+20], 16, v[vgprValuC+20] // convert C to bf16
v_cmp_u_f32 s[54:55], v[vgprValuC+21], v[vgprValuC+21] // check Nan
v_bfe_u32 v6, v[vgprValuC+21], 16, 1               // Non-Nan case: store lsb of bf16
v_add3_u32 v6, v[vgprValuC+21], v6, v9             // Non-Nan case: add lsb and the increment for rounding
v_cndmask_b32 v[vgprValuC+21], v6, v8, s[54:55]    // 
v_and_or_b32 v20, v[vgprValuC+21], v7, v[vgprValuC+20] // pack two bf16 to dword
v_lshlrev_b32 v4, 16, v19                          // convert bf16 to fp32
_v_mac_f32 v[vgprValuC+22], v4, s[sgprBeta]        // finalSum = sum*alpha + C*beta
v_and_b32 v4, v19, v7                              // convert bf16 to fp32
_v_mac_f32 v[vgprValuC+23], v4, s[sgprBeta]        // finalSum = sum*alpha + C*beta
v_cmp_u_f32 s[54:55], v[vgprValuC+22], v[vgprValuC+22] // check Nan
v_bfe_u32 v6, v[vgprValuC+22], 16, 1               // Non-Nan case: store lsb of bf16
v_add3_u32 v6, v[vgprValuC+22], v6, v9             // Non-Nan case: add lsb and the increment for rounding
v_cndmask_b32 v[vgprValuC+22], v6, v8, s[54:55]    // 
v_lshrrev_b32 v[vgprValuC+22], 16, v[vgprValuC+22] // convert C to bf16
v_cmp_u_f32 s[54:55], v[vgprValuC+23], v[vgprValuC+23] // check Nan
v_bfe_u32 v6, v[vgprValuC+23], 16, 1               // Non-Nan case: store lsb of bf16
v_add3_u32 v6, v[vgprValuC+23], v6, v9             // Non-Nan case: add lsb and the increment for rounding
v_cndmask_b32 v[vgprValuC+23], v6, v8, s[54:55]    // 
v_and_or_b32 v22, v[vgprValuC+23], v7, v[vgprValuC+22] // pack two bf16 to dword
v_lshlrev_b32 v4, 16, v24                          // convert bf16 to fp32
_v_mac_f32 v[vgprValuC+26], v4, s[sgprBeta]        // finalSum = sum*alpha + C*beta
v_and_b32 v4, v24, v7                              // convert bf16 to fp32
_v_mac_f32 v[vgprValuC+27], v4, s[sgprBeta]        // finalSum = sum*alpha + C*beta
v_cmp_u_f32 s[54:55], v[vgprValuC+26], v[vgprValuC+26] // check Nan
v_bfe_u32 v6, v[vgprValuC+26], 16, 1               // Non-Nan case: store lsb of bf16
v_add3_u32 v6, v[vgprValuC+26], v6, v9             // Non-Nan case: add lsb and the increment for rounding
v_cndmask_b32 v[vgprValuC+26], v6, v8, s[54:55]    // 
v_lshrrev_b32 v[vgprValuC+26], 16, v[vgprValuC+26] // convert C to bf16
v_cmp_u_f32 s[54:55], v[vgprValuC+27], v[vgprValuC+27] // check Nan
v_bfe_u32 v6, v[vgprValuC+27], 16, 1               // Non-Nan case: store lsb of bf16
v_add3_u32 v6, v[vgprValuC+27], v6, v9             // Non-Nan case: add lsb and the increment for rounding
v_cndmask_b32 v[vgprValuC+27], v6, v8, s[54:55]    // 
v_and_or_b32 v26, v[vgprValuC+27], v7, v[vgprValuC+26] // pack two bf16 to dword
v_lshlrev_b32 v4, 16, v25                          // convert bf16 to fp32
_v_mac_f32 v[vgprValuC+28], v4, s[sgprBeta]        // finalSum = sum*alpha + C*beta
v_and_b32 v4, v25, v7                              // convert bf16 to fp32
_v_mac_f32 v[vgprValuC+29], v4, s[sgprBeta]        // finalSum = sum*alpha + C*beta
v_cmp_u_f32 s[54:55], v[vgprValuC+28], v[vgprValuC+28] // check Nan
v_bfe_u32 v6, v[vgprValuC+28], 16, 1               // Non-Nan case: store lsb of bf16
v_add3_u32 v6, v[vgprValuC+28], v6, v9             // Non-Nan case: add lsb and the increment for rounding
v_cndmask_b32 v[vgprValuC+28], v6, v8, s[54:55]    // 
v_lshrrev_b32 v[vgprValuC+28], 16, v[vgprValuC+28] // convert C to bf16
v_cmp_u_f32 s[54:55], v[vgprValuC+29], v[vgprValuC+29] // check Nan
v_bfe_u32 v6, v[vgprValuC+29], 16, 1               // Non-Nan case: store lsb of bf16
v_add3_u32 v6, v[vgprValuC+29], v6, v9             // Non-Nan case: add lsb and the increment for rounding
v_cndmask_b32 v[vgprValuC+29], v6, v8, s[54:55]    // 
v_and_or_b32 v28, v[vgprValuC+29], v7, v[vgprValuC+28] // pack two bf16 to dword
v_lshlrev_b32 v4, 16, v30                          // convert bf16 to fp32
_v_mac_f32 v[vgprValuC+32], v4, s[sgprBeta]        // finalSum = sum*alpha + C*beta
v_and_b32 v4, v30, v7                              // convert bf16 to fp32
_v_mac_f32 v[vgprValuC+33], v4, s[sgprBeta]        // finalSum = sum*alpha + C*beta
v_cmp_u_f32 s[54:55], v[vgprValuC+32], v[vgprValuC+32] // check Nan
v_bfe_u32 v6, v[vgprValuC+32], 16, 1               // Non-Nan case: store lsb of bf16
v_add3_u32 v6, v[vgprValuC+32], v6, v9             // Non-Nan case: add lsb and the increment for rounding
v_cndmask_b32 v[vgprValuC+32], v6, v8, s[54:55]    // 
v_lshrrev_b32 v[vgprValuC+32], 16, v[vgprValuC+32] // convert C to bf16
v_cmp_u_f32 s[54:55], v[vgprValuC+33], v[vgprValuC+33] // check Nan
v_bfe_u32 v6, v[vgprValuC+33], 16, 1               // Non-Nan case: store lsb of bf16
v_add3_u32 v6, v[vgprValuC+33], v6, v9             // Non-Nan case: add lsb and the increment for rounding
v_cndmask_b32 v[vgprValuC+33], v6, v8, s[54:55]    // 
v_and_or_b32 v32, v[vgprValuC+33], v7, v[vgprValuC+32] // pack two bf16 to dword
v_lshlrev_b32 v4, 16, v31                          // convert bf16 to fp32
_v_mac_f32 v[vgprValuC+34], v4, s[sgprBeta]        // finalSum = sum*alpha + C*beta
v_and_b32 v4, v31, v7                              // convert bf16 to fp32
_v_mac_f32 v[vgprValuC+35], v4, s[sgprBeta]        // finalSum = sum*alpha + C*beta
v_cmp_u_f32 s[54:55], v[vgprValuC+34], v[vgprValuC+34] // check Nan
v_bfe_u32 v6, v[vgprValuC+34], 16, 1               // Non-Nan case: store lsb of bf16
v_add3_u32 v6, v[vgprValuC+34], v6, v9             // Non-Nan case: add lsb and the increment for rounding
v_cndmask_b32 v[vgprValuC+34], v6, v8, s[54:55]    // 
v_lshrrev_b32 v[vgprValuC+34], 16, v[vgprValuC+34] // convert C to bf16
v_cmp_u_f32 s[54:55], v[vgprValuC+35], v[vgprValuC+35] // check Nan
v_bfe_u32 v6, v[vgprValuC+35], 16, 1               // Non-Nan case: store lsb of bf16
v_add3_u32 v6, v[vgprValuC+35], v6, v9             // Non-Nan case: add lsb and the increment for rounding
v_cndmask_b32 v[vgprValuC+35], v6, v8, s[54:55]    // 
v_and_or_b32 v34, v[vgprValuC+35], v7, v[vgprValuC+34] // pack two bf16 to dword
v_lshlrev_b32 v4, 16, v36                          // convert bf16 to fp32
_v_mac_f32 v[vgprValuC+38], v4, s[sgprBeta]        // finalSum = sum*alpha + C*beta
v_and_b32 v4, v36, v7                              // convert bf16 to fp32
_v_mac_f32 v[vgprValuC+39], v4, s[sgprBeta]        // finalSum = sum*alpha + C*beta
v_cmp_u_f32 s[54:55], v[vgprValuC+38], v[vgprValuC+38] // check Nan
v_bfe_u32 v6, v[vgprValuC+38], 16, 1               // Non-Nan case: store lsb of bf16
v_add3_u32 v6, v[vgprValuC+38], v6, v9             // Non-Nan case: add lsb and the increment for rounding
v_cndmask_b32 v[vgprValuC+38], v6, v8, s[54:55]    // 
v_lshrrev_b32 v[vgprValuC+38], 16, v[vgprValuC+38] // convert C to bf16
v_cmp_u_f32 s[54:55], v[vgprValuC+39], v[vgprValuC+39] // check Nan
v_bfe_u32 v6, v[vgprValuC+39], 16, 1               // Non-Nan case: store lsb of bf16
v_add3_u32 v6, v[vgprValuC+39], v6, v9             // Non-Nan case: add lsb and the increment for rounding
v_cndmask_b32 v[vgprValuC+39], v6, v8, s[54:55]    // 
v_and_or_b32 v38, v[vgprValuC+39], v7, v[vgprValuC+38] // pack two bf16 to dword
v_lshlrev_b32 v4, 16, v37                          // convert bf16 to fp32
_v_mac_f32 v[vgprValuC+40], v4, s[sgprBeta]        // finalSum = sum*alpha + C*beta
v_and_b32 v4, v37, v7                              // convert bf16 to fp32
_v_mac_f32 v[vgprValuC+41], v4, s[sgprBeta]        // finalSum = sum*alpha + C*beta
v_cmp_u_f32 s[54:55], v[vgprValuC+40], v[vgprValuC+40] // check Nan
v_bfe_u32 v6, v[vgprValuC+40], 16, 1               // Non-Nan case: store lsb of bf16
v_add3_u32 v6, v[vgprValuC+40], v6, v9             // Non-Nan case: add lsb and the increment for rounding
v_cndmask_b32 v[vgprValuC+40], v6, v8, s[54:55]    // 
v_lshrrev_b32 v[vgprValuC+40], 16, v[vgprValuC+40] // convert C to bf16
v_cmp_u_f32 s[54:55], v[vgprValuC+41], v[vgprValuC+41] // check Nan
v_bfe_u32 v6, v[vgprValuC+41], 16, 1               // Non-Nan case: store lsb of bf16
v_add3_u32 v6, v[vgprValuC+41], v6, v9             // Non-Nan case: add lsb and the increment for rounding
v_cndmask_b32 v[vgprValuC+41], v6, v8, s[54:55]    // 
v_and_or_b32 v40, v[vgprValuC+41], v7, v[vgprValuC+40] // pack two bf16 to dword
v_lshlrev_b32 v4, 16, v42                          // convert bf16 to fp32
_v_mac_f32 v[vgprValuC+44], v4, s[sgprBeta]        // finalSum = sum*alpha + C*beta
v_and_b32 v4, v42, v7                              // convert bf16 to fp32
_v_mac_f32 v[vgprValuC+45], v4, s[sgprBeta]        // finalSum = sum*alpha + C*beta
v_cmp_u_f32 s[54:55], v[vgprValuC+44], v[vgprValuC+44] // check Nan
v_bfe_u32 v6, v[vgprValuC+44], 16, 1               // Non-Nan case: store lsb of bf16
v_add3_u32 v6, v[vgprValuC+44], v6, v9             // Non-Nan case: add lsb and the increment for rounding
v_cndmask_b32 v[vgprValuC+44], v6, v8, s[54:55]    // 
v_lshrrev_b32 v[vgprValuC+44], 16, v[vgprValuC+44] // convert C to bf16
v_cmp_u_f32 s[54:55], v[vgprValuC+45], v[vgprValuC+45] // check Nan
v_bfe_u32 v6, v[vgprValuC+45], 16, 1               // Non-Nan case: store lsb of bf16
v_add3_u32 v6, v[vgprValuC+45], v6, v9             // Non-Nan case: add lsb and the increment for rounding
v_cndmask_b32 v[vgprValuC+45], v6, v8, s[54:55]    // 
v_and_or_b32 v44, v[vgprValuC+45], v7, v[vgprValuC+44] // pack two bf16 to dword
v_lshlrev_b32 v4, 16, v43                          // convert bf16 to fp32
_v_mac_f32 v[vgprValuC+46], v4, s[sgprBeta]        // finalSum = sum*alpha + C*beta
v_and_b32 v4, v43, v7                              // convert bf16 to fp32
_v_mac_f32 v[vgprValuC+47], v4, s[sgprBeta]        // finalSum = sum*alpha + C*beta
v_cmp_u_f32 s[54:55], v[vgprValuC+46], v[vgprValuC+46] // check Nan
v_bfe_u32 v6, v[vgprValuC+46], 16, 1               // Non-Nan case: store lsb of bf16
v_add3_u32 v6, v[vgprValuC+46], v6, v9             // Non-Nan case: add lsb and the increment for rounding
v_cndmask_b32 v[vgprValuC+46], v6, v8, s[54:55]    // 
v_lshrrev_b32 v[vgprValuC+46], 16, v[vgprValuC+46] // convert C to bf16
v_cmp_u_f32 s[54:55], v[vgprValuC+47], v[vgprValuC+47] // check Nan
v_bfe_u32 v6, v[vgprValuC+47], 16, 1               // Non-Nan case: store lsb of bf16
v_add3_u32 v6, v[vgprValuC+47], v6, v9             // Non-Nan case: add lsb and the increment for rounding
v_cndmask_b32 v[vgprValuC+47], v6, v8, s[54:55]    // 
v_and_or_b32 v46, v[vgprValuC+47], v7, v[vgprValuC+46] // pack two bf16 to dword
v_lshlrev_b32 v4, 16, v48                          // convert bf16 to fp32
_v_mac_f32 v[vgprValuC+50], v4, s[sgprBeta]        // finalSum = sum*alpha + C*beta
v_and_b32 v4, v48, v7                              // convert bf16 to fp32
_v_mac_f32 v[vgprValuC+51], v4, s[sgprBeta]        // finalSum = sum*alpha + C*beta
v_cmp_u_f32 s[54:55], v[vgprValuC+50], v[vgprValuC+50] // check Nan
v_bfe_u32 v6, v[vgprValuC+50], 16, 1               // Non-Nan case: store lsb of bf16
v_add3_u32 v6, v[vgprValuC+50], v6, v9             // Non-Nan case: add lsb and the increment for rounding
v_cndmask_b32 v[vgprValuC+50], v6, v8, s[54:55]    // 
v_lshrrev_b32 v[vgprValuC+50], 16, v[vgprValuC+50] // convert C to bf16
v_cmp_u_f32 s[54:55], v[vgprValuC+51], v[vgprValuC+51] // check Nan
v_bfe_u32 v6, v[vgprValuC+51], 16, 1               // Non-Nan case: store lsb of bf16
v_add3_u32 v6, v[vgprValuC+51], v6, v9             // Non-Nan case: add lsb and the increment for rounding
v_cndmask_b32 v[vgprValuC+51], v6, v8, s[54:55]    // 
v_and_or_b32 v50, v[vgprValuC+51], v7, v[vgprValuC+50] // pack two bf16 to dword
v_lshlrev_b32 v4, 16, v49                          // convert bf16 to fp32
_v_mac_f32 v[vgprValuC+52], v4, s[sgprBeta]        // finalSum = sum*alpha + C*beta
v_and_b32 v4, v49, v7                              // convert bf16 to fp32
_v_mac_f32 v[vgprValuC+53], v4, s[sgprBeta]        // finalSum = sum*alpha + C*beta
v_cmp_u_f32 s[54:55], v[vgprValuC+52], v[vgprValuC+52] // check Nan
v_bfe_u32 v6, v[vgprValuC+52], 16, 1               // Non-Nan case: store lsb of bf16
v_add3_u32 v6, v[vgprValuC+52], v6, v9             // Non-Nan case: add lsb and the increment for rounding
v_cndmask_b32 v[vgprValuC+52], v6, v8, s[54:55]    // 
v_lshrrev_b32 v[vgprValuC+52], 16, v[vgprValuC+52] // convert C to bf16
v_cmp_u_f32 s[54:55], v[vgprValuC+53], v[vgprValuC+53] // check Nan
v_bfe_u32 v6, v[vgprValuC+53], 16, 1               // Non-Nan case: store lsb of bf16
v_add3_u32 v6, v[vgprValuC+53], v6, v9             // Non-Nan case: add lsb and the increment for rounding
v_cndmask_b32 v[vgprValuC+53], v6, v8, s[54:55]    // 
v_and_or_b32 v52, v[vgprValuC+53], v7, v[vgprValuC+52] // pack two bf16 to dword
v_lshlrev_b32 v4, 16, v54                          // convert bf16 to fp32
_v_mac_f32 v[vgprValuC+56], v4, s[sgprBeta]        // finalSum = sum*alpha + C*beta
v_and_b32 v4, v54, v7                              // convert bf16 to fp32
_v_mac_f32 v[vgprValuC+57], v4, s[sgprBeta]        // finalSum = sum*alpha + C*beta
v_cmp_u_f32 s[54:55], v[vgprValuC+56], v[vgprValuC+56] // check Nan
v_bfe_u32 v6, v[vgprValuC+56], 16, 1               // Non-Nan case: store lsb of bf16
v_add3_u32 v6, v[vgprValuC+56], v6, v9             // Non-Nan case: add lsb and the increment for rounding
v_cndmask_b32 v[vgprValuC+56], v6, v8, s[54:55]    // 
v_lshrrev_b32 v[vgprValuC+56], 16, v[vgprValuC+56] // convert C to bf16
v_cmp_u_f32 s[54:55], v[vgprValuC+57], v[vgprValuC+57] // check Nan
v_bfe_u32 v6, v[vgprValuC+57], 16, 1               // Non-Nan case: store lsb of bf16
v_add3_u32 v6, v[vgprValuC+57], v6, v9             // Non-Nan case: add lsb and the increment for rounding
v_cndmask_b32 v[vgprValuC+57], v6, v8, s[54:55]    // 
v_and_or_b32 v56, v[vgprValuC+57], v7, v[vgprValuC+56] // pack two bf16 to dword
v_lshlrev_b32 v4, 16, v55                          // convert bf16 to fp32
_v_mac_f32 v[vgprValuC+58], v4, s[sgprBeta]        // finalSum = sum*alpha + C*beta
v_and_b32 v4, v55, v7                              // convert bf16 to fp32
_v_mac_f32 v[vgprValuC+59], v4, s[sgprBeta]        // finalSum = sum*alpha + C*beta
v_cmp_u_f32 s[54:55], v[vgprValuC+58], v[vgprValuC+58] // check Nan
v_bfe_u32 v6, v[vgprValuC+58], 16, 1               // Non-Nan case: store lsb of bf16
v_add3_u32 v6, v[vgprValuC+58], v6, v9             // Non-Nan case: add lsb and the increment for rounding
v_cndmask_b32 v[vgprValuC+58], v6, v8, s[54:55]    // 
v_lshrrev_b32 v[vgprValuC+58], 16, v[vgprValuC+58] // convert C to bf16
v_cmp_u_f32 s[54:55], v[vgprValuC+59], v[vgprValuC+59] // check Nan
v_bfe_u32 v6, v[vgprValuC+59], 16, 1               // Non-Nan case: store lsb of bf16
v_add3_u32 v6, v[vgprValuC+59], v6, v9             // Non-Nan case: add lsb and the increment for rounding
v_cndmask_b32 v[vgprValuC+59], v6, v8, s[54:55]    // 
v_and_or_b32 v58, v[vgprValuC+59], v7, v[vgprValuC+58] // pack two bf16 to dword
s_mul_i32 s54, s[sgprStrideD1J], 10                // scale StrideD *= numRows(5) * bpe
s_add_u32  s[sgprSrdD+0], s[sgprSrdD+0], s54       // incToNextRow: gra SRD += inc(lower)
s_addc_u32  s[sgprSrdD+1], s[sgprSrdD+1], 0        // incToNextRow: gra SRD += inc(upper)
_buffer_store_b32 v14, v10, s[sgprSrdD:sgprSrdD+3], 0, offen, offset:0 // store D
_buffer_store_b32 v16, v10, s[sgprSrdD:sgprSrdD+3], 0, offen, offset:256 // store D
s_lshl_b32  s54, s[sgprStrideD1J], 1               // incToNextRow: Scale by BPE
s_add_u32  s[sgprSrdD+0], s[sgprSrdD+0], s54       // incToNextRow: gra SRD += inc(lower)
s_addc_u32  s[sgprSrdD+1], s[sgprSrdD+1], 0        // incToNextRow: gra SRD += inc(upper)
_buffer_store_b32 v20, v10, s[sgprSrdD:sgprSrdD+3], 0, offen, offset:0 // store D
_buffer_store_b32 v22, v10, s[sgprSrdD:sgprSrdD+3], 0, offen, offset:256 // store D
s_lshl_b32  s54, s[sgprStrideD1J], 1               // incToNextRow: Scale by BPE
	;; [unrolled: 5-line block ×3, first 2 shown]
s_add_u32  s[sgprSrdD+0], s[sgprSrdD+0], s54       // incToNextRow: gra SRD += inc(lower)
s_addc_u32  s[sgprSrdD+1], s[sgprSrdD+1], 0        // incToNextRow: gra SRD += inc(upper)
_buffer_store_b32 v32, v10, s[sgprSrdD:sgprSrdD+3], 0, offen, offset:0 // store D
_buffer_store_b32 v34, v10, s[sgprSrdD:sgprSrdD+3], 0, offen, offset:256 // store D
s_mul_i32 s54, s[sgprStrideD1J], 10                // scale StrideD *= numRows(5) * bpe
s_add_u32  s[sgprSrdD+0], s[sgprSrdD+0], s54       // incToNextRow: gra SRD += inc(lower)
s_addc_u32  s[sgprSrdD+1], s[sgprSrdD+1], 0        // incToNextRow: gra SRD += inc(upper)
_buffer_store_b32 v38, v10, s[sgprSrdD:sgprSrdD+3], 0, offen, offset:0 // store D
_buffer_store_b32 v40, v10, s[sgprSrdD:sgprSrdD+3], 0, offen, offset:256 // store D
s_lshl_b32  s54, s[sgprStrideD1J], 1               // incToNextRow: Scale by BPE
s_add_u32  s[sgprSrdD+0], s[sgprSrdD+0], s54       // incToNextRow: gra SRD += inc(lower)
s_addc_u32  s[sgprSrdD+1], s[sgprSrdD+1], 0        // incToNextRow: gra SRD += inc(upper)
_buffer_store_b32 v44, v10, s[sgprSrdD:sgprSrdD+3], 0, offen, offset:0 // store D
_buffer_store_b32 v46, v10, s[sgprSrdD:sgprSrdD+3], 0, offen, offset:256 // store D
s_lshl_b32  s54, s[sgprStrideD1J], 1               // incToNextRow: Scale by BPE
	;; [unrolled: 5-line block ×3, first 2 shown]
s_add_u32  s[sgprSrdD+0], s[sgprSrdD+0], s54       // incToNextRow: gra SRD += inc(lower)
s_addc_u32  s[sgprSrdD+1], s[sgprSrdD+1], 0        // incToNextRow: gra SRD += inc(upper)
_buffer_store_b32 v56, v10, s[sgprSrdD:sgprSrdD+3], 0, offen, offset:0 // store D
_buffer_store_b32 v58, v10, s[sgprSrdD:sgprSrdD+3], 0, offen, offset:256 // store D
s_nop 0                                            // 1 wait state required when next inst writes vgprs held by previous dwordx4 store inst
s_branch label_GW_End_44                           // jump to end
GW_B1_E1_43:

/* edge=1, allocate 6 sgpr. perBatchTmpS=4 perBatchMaskS=2 perElementMaskS=0 elementsPerBatch=16 */
/* optSingleColVgpr=0 optSharedColVgpr=0 optSGPRUsage=BufferLoad_Edge_Mask optSrdIncForRow=0 */
s_sleep 3 // optimization: sync and wait
s_barrier

/******************************************/
/* Global Write Alpha Beta Edge Batch #0 (d1,d0,vc1,vc0) = */
/*    (0,0,0,0:vw2); (0,1,0,0:vw2); (0,0,1,0:vw2); (0,1,1,0:vw2); (0,0,2,0:vw2); (0,1,2,0:vw2); (0,0,3,0:vw2); (0,1,3,0:vw2); (1,0,0,0:vw2); (1,1,0,0:vw2); (1,0,1,0:vw2); (1,1,1,0:vw2); (1,0,2,0:vw2); (1,1,2,0:vw2); (1,0,3,0:vw2); (1,1,3,0:vw2) */
/******************************************/

/* calc coords, apply mask, and issue loads (if necessary) */
/* (d1,vc1,d0,vc0)=(0,0,0,0) */
v_cmp_lt_u32 s[54:55], v0, s[sgprSizeI]            // coord0 < size0
v_cmp_lt_u32 s[58:59], v1, s[sgprSizeJ]            // coord1 < size1
s_and_b64 s[58:59], s[54:55], s[58:59]             // in0 && in1
_v_add_lshl_u32 v11, v2, v0, 0x1                   // scaleToBpe: accumulate d0 lower and *= bpe into Cin addr
v_cndmask_b32 v11, -1, v11, s[58:59]               // LDC clip if OOB. offset
_v_add_lshl_u32 v10, v3, v0, 0x1                   // scaleToBpe: accumulate d0 lower and *= bpe into Cin addr
v_cndmask_b32 v10, -1, v10, s[58:59]               // LDD clip if OOB. offset
/* (d1,vc1,d0,vc0)=(0,0,1,0) */
s_mov_b32 s54, 128                                 // coordOffset0 d0=1 vc0=0
_v_add_co_u32 v4, vcc, v0, s54                     // coord0.2: coord0 += d0*sg0*VW + vc0
v_cmp_lt_u32 s[54:55], v4, s[sgprSizeI]            // coord0 < size0
v_cmp_lt_u32 s[58:59], v1, s[sgprSizeJ]            // coord1 < size1
s_and_b64 s[58:59], s[54:55], s[58:59]             // in0 && in1
_v_add_lshl_u32 v16, v2, v4, 0x1                   // scaleToBpe: accumulate d0 lower and *= bpe into Cin addr
v_cndmask_b32 v16, -1, v16, s[58:59]               // LDC clip if OOB. offset
_v_add_lshl_u32 v13, v3, v4, 0x1                   // scaleToBpe: accumulate d0 lower and *= bpe into Cin addr
v_cndmask_b32 v13, -1, v13, s[58:59]               // LDD clip if OOB. offset
/* (d1,vc1,d0,vc0)=(0,1,0,0) */
_v_add_co_u32 v1, vcc, v1, 1                       // coord1.1: coord1Vgpr += d1*sg1*VW + vc1

/* Fix for UseInitialStridesCD, emitAddressSetupCode */
_v_add_u32 v2, v2, s[sgprStrideC1J]                // ROWINC- Move cinRowPtr to next row
_v_add_u32 v3, v3, s[sgprStrideD1J]                // Move coutRowPtr to next row
v_cmp_lt_u32 s[54:55], v0, s[sgprSizeI]            // coord0 < size0
v_cmp_lt_u32 s[58:59], v1, s[sgprSizeJ]            // coord1 < size1
s_and_b64 s[58:59], s[54:55], s[58:59]             // in0 && in1
_v_add_lshl_u32 v21, v2, v0, 0x1                   // scaleToBpe: accumulate d0 lower and *= bpe into Cin addr
v_cndmask_b32 v21, -1, v21, s[58:59]               // LDC clip if OOB. offset
_v_add_lshl_u32 v20, v3, v0, 0x1                   // scaleToBpe: accumulate d0 lower and *= bpe into Cin addr
v_cndmask_b32 v20, -1, v20, s[58:59]               // LDD clip if OOB. offset
/* (d1,vc1,d0,vc0)=(0,1,1,0) */
s_mov_b32 s54, 128                                 // coordOffset0 d0=1 vc0=0
_v_add_co_u32 v4, vcc, v0, s54                     // coord0.2: coord0 += d0*sg0*VW + vc0
v_cmp_lt_u32 s[54:55], v4, s[sgprSizeI]            // coord0 < size0
v_cmp_lt_u32 s[58:59], v1, s[sgprSizeJ]            // coord1 < size1
s_and_b64 s[58:59], s[54:55], s[58:59]             // in0 && in1
_v_add_lshl_u32 v26, v2, v4, 0x1                   // scaleToBpe: accumulate d0 lower and *= bpe into Cin addr
v_cndmask_b32 v26, -1, v26, s[58:59]               // LDC clip if OOB. offset
_v_add_lshl_u32 v23, v3, v4, 0x1                   // scaleToBpe: accumulate d0 lower and *= bpe into Cin addr
v_cndmask_b32 v23, -1, v23, s[58:59]               // LDD clip if OOB. offset
/* (d1,vc1,d0,vc0)=(0,2,0,0) */
_v_add_co_u32 v1, vcc, v1, 1                       // coord1.1: coord1Vgpr += d1*sg1*VW + vc1

/* Fix for UseInitialStridesCD, emitAddressSetupCode */
_v_add_u32 v2, v2, s[sgprStrideC1J]                // ROWINC- Move cinRowPtr to next row
_v_add_u32 v3, v3, s[sgprStrideD1J]                // Move coutRowPtr to next row
	;; [unrolled: 23-line block ×3, first 2 shown]
v_cmp_lt_u32 s[54:55], v0, s[sgprSizeI]            // coord0 < size0
v_cmp_lt_u32 s[58:59], v1, s[sgprSizeJ]            // coord1 < size1
s_and_b64 s[58:59], s[54:55], s[58:59]             // in0 && in1
_v_add_lshl_u32 v41, v2, v0, 0x1                   // scaleToBpe: accumulate d0 lower and *= bpe into Cin addr
v_cndmask_b32 v41, -1, v41, s[58:59]               // LDC clip if OOB. offset
_v_add_lshl_u32 v40, v3, v0, 0x1                   // scaleToBpe: accumulate d0 lower and *= bpe into Cin addr
v_cndmask_b32 v40, -1, v40, s[58:59]               // LDD clip if OOB. offset
/* (d1,vc1,d0,vc0)=(0,3,1,0) */
s_mov_b32 s54, 128                                 // coordOffset0 d0=1 vc0=0
_v_add_co_u32 v4, vcc, v0, s54                     // coord0.2: coord0 += d0*sg0*VW + vc0
v_cmp_lt_u32 s[54:55], v4, s[sgprSizeI]            // coord0 < size0
v_cmp_lt_u32 s[58:59], v1, s[sgprSizeJ]            // coord1 < size1
s_and_b64 s[58:59], s[54:55], s[58:59]             // in0 && in1
_v_add_lshl_u32 v46, v2, v4, 0x1                   // scaleToBpe: accumulate d0 lower and *= bpe into Cin addr
v_cndmask_b32 v46, -1, v46, s[58:59]               // LDC clip if OOB. offset
_v_add_lshl_u32 v43, v3, v4, 0x1                   // scaleToBpe: accumulate d0 lower and *= bpe into Cin addr
v_cndmask_b32 v43, -1, v43, s[58:59]               // LDD clip if OOB. offset
/* (d1,vc1,d0,vc0)=(1,0,0,0) */
_v_add_co_u32 v1, vcc, v1, 5                       // coord1.1: coord1Vgpr += d1*sg1*VW + vc1

/* Fix for UseInitialStridesCD, emitAddressSetupCode */
s_mul_i32 s54, s[sgprStrideC1J], 5                 // scale stride
_v_add_u32 v2, v2, s54                             // ROWINC- Move cinRowPtr to next row
s_mul_i32 s54, s[sgprStrideD1J], 5                 // scale stride
_v_add_u32 v3, v3, s54                             // Move coutRowPtr to next row
v_cmp_lt_u32 s[54:55], v0, s[sgprSizeI]            // coord0 < size0
v_cmp_lt_u32 s[58:59], v1, s[sgprSizeJ]            // coord1 < size1
s_and_b64 s[58:59], s[54:55], s[58:59]             // in0 && in1
_v_add_lshl_u32 v51, v2, v0, 0x1                   // scaleToBpe: accumulate d0 lower and *= bpe into Cin addr
v_cndmask_b32 v51, -1, v51, s[58:59]               // LDC clip if OOB. offset
_v_add_lshl_u32 v50, v3, v0, 0x1                   // scaleToBpe: accumulate d0 lower and *= bpe into Cin addr
v_cndmask_b32 v50, -1, v50, s[58:59]               // LDD clip if OOB. offset
/* (d1,vc1,d0,vc0)=(1,0,1,0) */
s_mov_b32 s54, 128                                 // coordOffset0 d0=1 vc0=0
_v_add_co_u32 v4, vcc, v0, s54                     // coord0.2: coord0 += d0*sg0*VW + vc0
v_cmp_lt_u32 s[54:55], v4, s[sgprSizeI]            // coord0 < size0
v_cmp_lt_u32 s[58:59], v1, s[sgprSizeJ]            // coord1 < size1
s_and_b64 s[58:59], s[54:55], s[58:59]             // in0 && in1
_v_add_lshl_u32 v56, v2, v4, 0x1                   // scaleToBpe: accumulate d0 lower and *= bpe into Cin addr
v_cndmask_b32 v56, -1, v56, s[58:59]               // LDC clip if OOB. offset
_v_add_lshl_u32 v53, v3, v4, 0x1                   // scaleToBpe: accumulate d0 lower and *= bpe into Cin addr
v_cndmask_b32 v53, -1, v53, s[58:59]               // LDD clip if OOB. offset
/* (d1,vc1,d0,vc0)=(1,1,0,0) */
_v_add_co_u32 v1, vcc, v1, 1                       // coord1.1: coord1Vgpr += d1*sg1*VW + vc1

/* Fix for UseInitialStridesCD, emitAddressSetupCode */
_v_add_u32 v2, v2, s[sgprStrideC1J]                // ROWINC- Move cinRowPtr to next row
_v_add_u32 v3, v3, s[sgprStrideD1J]                // Move coutRowPtr to next row
v_cmp_lt_u32 s[54:55], v0, s[sgprSizeI]            // coord0 < size0
v_cmp_lt_u32 s[58:59], v1, s[sgprSizeJ]            // coord1 < size1
s_and_b64 s[58:59], s[54:55], s[58:59]             // in0 && in1
_v_add_lshl_u32 v61, v2, v0, 0x1                   // scaleToBpe: accumulate d0 lower and *= bpe into Cin addr
v_cndmask_b32 v61, -1, v61, s[58:59]               // LDC clip if OOB. offset
_v_add_lshl_u32 v60, v3, v0, 0x1                   // scaleToBpe: accumulate d0 lower and *= bpe into Cin addr
v_cndmask_b32 v60, -1, v60, s[58:59]               // LDD clip if OOB. offset
/* (d1,vc1,d0,vc0)=(1,1,1,0) */
s_mov_b32 s54, 128                                 // coordOffset0 d0=1 vc0=0
_v_add_co_u32 v4, vcc, v0, s54                     // coord0.2: coord0 += d0*sg0*VW + vc0
v_cmp_lt_u32 s[54:55], v4, s[sgprSizeI]            // coord0 < size0
v_cmp_lt_u32 s[58:59], v1, s[sgprSizeJ]            // coord1 < size1
s_and_b64 s[58:59], s[54:55], s[58:59]             // in0 && in1
_v_add_lshl_u32 v66, v2, v4, 0x1                   // scaleToBpe: accumulate d0 lower and *= bpe into Cin addr
v_cndmask_b32 v66, -1, v66, s[58:59]               // LDC clip if OOB. offset
_v_add_lshl_u32 v63, v3, v4, 0x1                   // scaleToBpe: accumulate d0 lower and *= bpe into Cin addr
v_cndmask_b32 v63, -1, v63, s[58:59]               // LDD clip if OOB. offset
/* (d1,vc1,d0,vc0)=(1,2,0,0) */
_v_add_co_u32 v1, vcc, v1, 1                       // coord1.1: coord1Vgpr += d1*sg1*VW + vc1

/* Fix for UseInitialStridesCD, emitAddressSetupCode */
_v_add_u32 v2, v2, s[sgprStrideC1J]                // ROWINC- Move cinRowPtr to next row
_v_add_u32 v3, v3, s[sgprStrideD1J]                // Move coutRowPtr to next row
	;; [unrolled: 23-line block ×3, first 2 shown]
v_cmp_lt_u32 s[54:55], v0, s[sgprSizeI]            // coord0 < size0
v_cmp_lt_u32 s[58:59], v1, s[sgprSizeJ]            // coord1 < size1
s_and_b64 s[58:59], s[54:55], s[58:59]             // in0 && in1
_v_add_lshl_u32 v81, v2, v0, 0x1                   // scaleToBpe: accumulate d0 lower and *= bpe into Cin addr
v_cndmask_b32 v81, -1, v81, s[58:59]               // LDC clip if OOB. offset
_v_add_lshl_u32 v80, v3, v0, 0x1                   // scaleToBpe: accumulate d0 lower and *= bpe into Cin addr
v_cndmask_b32 v80, -1, v80, s[58:59]               // LDD clip if OOB. offset
/* (d1,vc1,d0,vc0)=(1,3,1,0) */
s_mov_b32 s54, 128                                 // coordOffset0 d0=1 vc0=0
_v_add_co_u32 v4, vcc, v0, s54                     // coord0.2: coord0 += d0*sg0*VW + vc0
v_cmp_lt_u32 s[54:55], v4, s[sgprSizeI]            // coord0 < size0
v_cmp_lt_u32 s[58:59], v1, s[sgprSizeJ]            // coord1 < size1
s_and_b64 s[58:59], s[54:55], s[58:59]             // in0 && in1
_v_add_lshl_u32 v86, v2, v4, 0x1                   // scaleToBpe: accumulate d0 lower and *= bpe into Cin addr
v_cndmask_b32 v86, -1, v86, s[58:59]               // LDC clip if OOB. offset
_v_add_lshl_u32 v83, v3, v4, 0x1                   // scaleToBpe: accumulate d0 lower and *= bpe into Cin addr
v_cndmask_b32 v83, -1, v83, s[58:59]               // LDD clip if OOB. offset
_buffer_load_b32 v12, v11, s[sgprSrdC:sgprSrdC+3], 0, offen offset:0 // load C for beta calc
_buffer_load_b32 v17, v16, s[sgprSrdC:sgprSrdC+3], 0, offen offset:0 // load C for beta calc
	;; [unrolled: 1-line block ×16, first 2 shown]
s_sleep 3 // optimization: sync and wait
s_barrier
v_accvgpr_read_b32 v[vgprValuC+14], acc0 // copy acc to vreg[0]
v_accvgpr_read_b32 v[vgprValuC+15], acc16 // copy acc to vreg[1]
v_accvgpr_read_b32 v[vgprValuC+18], acc32 // copy acc to vreg[2]
v_accvgpr_read_b32 v[vgprValuC+19], acc48 // copy acc to vreg[3]
v_accvgpr_read_b32 v[vgprValuC+24], acc1 // copy acc to vreg[4]
v_accvgpr_read_b32 v[vgprValuC+25], acc17 // copy acc to vreg[5]
v_accvgpr_read_b32 v[vgprValuC+28], acc33 // copy acc to vreg[6]
v_accvgpr_read_b32 v[vgprValuC+29], acc49 // copy acc to vreg[7]
v_accvgpr_read_b32 v[vgprValuC+34], acc2 // copy acc to vreg[8]
v_accvgpr_read_b32 v[vgprValuC+35], acc18 // copy acc to vreg[9]
v_accvgpr_read_b32 v[vgprValuC+38], acc34 // copy acc to vreg[10]
v_accvgpr_read_b32 v[vgprValuC+39], acc50 // copy acc to vreg[11]
v_accvgpr_read_b32 v[vgprValuC+44], acc3 // copy acc to vreg[12]
v_accvgpr_read_b32 v[vgprValuC+45], acc19 // copy acc to vreg[13]
v_accvgpr_read_b32 v[vgprValuC+48], acc35 // copy acc to vreg[14]
v_accvgpr_read_b32 v[vgprValuC+49], acc51 // copy acc to vreg[15]
v_accvgpr_read_b32 v[vgprValuC+54], acc4 // copy acc to vreg[16]
v_accvgpr_read_b32 v[vgprValuC+55], acc20 // copy acc to vreg[17]
v_accvgpr_read_b32 v[vgprValuC+58], acc36 // copy acc to vreg[18]
v_accvgpr_read_b32 v[vgprValuC+59], acc52 // copy acc to vreg[19]
v_accvgpr_read_b32 v[vgprValuC+64], acc5 // copy acc to vreg[20]
v_accvgpr_read_b32 v[vgprValuC+65], acc21 // copy acc to vreg[21]
v_accvgpr_read_b32 v[vgprValuC+68], acc37 // copy acc to vreg[22]
v_accvgpr_read_b32 v[vgprValuC+69], acc53 // copy acc to vreg[23]
v_accvgpr_read_b32 v[vgprValuC+74], acc6 // copy acc to vreg[24]
v_accvgpr_read_b32 v[vgprValuC+75], acc22 // copy acc to vreg[25]
v_accvgpr_read_b32 v[vgprValuC+78], acc38 // copy acc to vreg[26]
v_accvgpr_read_b32 v[vgprValuC+79], acc54 // copy acc to vreg[27]
v_accvgpr_read_b32 v[vgprValuC+84], acc7 // copy acc to vreg[28]
v_accvgpr_read_b32 v[vgprValuC+85], acc23 // copy acc to vreg[29]
v_accvgpr_read_b32 v[vgprValuC+88], acc39 // copy acc to vreg[30]
v_accvgpr_read_b32 v[vgprValuC+89], acc55 // copy acc to vreg[31]
s_nop 1                                            // 2 wait states required before reading vgpr

/* rC *= alpha batchElements=[(0, 0, 0, 0), (0, 1, 0, 0), (0, 0, 1, 0), (0, 1, 1, 0), (0, 0, 2, 0), (0, 1, 2, 0), (0, 0, 3, 0), (0, 1, 3, 0), (1, 0, 0, 0), (1, 1, 0, 0), (1, 0, 1, 0), (1, 1, 1, 0), (1, 0, 2, 0), (1, 1, 2, 0), (1, 0, 3, 0), (1, 1, 3, 0)] */
v_mul_f32 v[vgprValuC+14], s[sgprAlpha], v[vgprValuC+14] // *= alpha
v_mul_f32 v[vgprValuC+15], s[sgprAlpha], v[vgprValuC+15] // *= alpha
	;; [unrolled: 1-line block ×32, first 2 shown]
s_waitcnt vmcnt(0)                                 // wait C

/* apply mask, calc new C and issue writes */
v_mov_b32 v7, 0xffff0000                           // mask for pack two bfloat16 element to 32bit
v_mov_b32 v8, 0x7fff0000                           // fp32 Nan
v_mov_b32 v9, 0x7fff                               // rounding bias for bfloat16
v_lshlrev_b32 v4, 16, v12                          // convert bf16 to fp32
_v_mac_f32 v[vgprValuC+14], v4, s[sgprBeta]        // finalSum = sum*alpha + C*beta
v_and_b32 v4, v12, v7                              // convert bf16 to fp32
_v_mac_f32 v[vgprValuC+15], v4, s[sgprBeta]        // finalSum = sum*alpha + C*beta
v_cmp_u_f32 s[54:55], v[vgprValuC+14], v[vgprValuC+14] // check Nan
v_bfe_u32 v6, v[vgprValuC+14], 16, 1               // Non-Nan case: store lsb of bf16
v_add3_u32 v6, v[vgprValuC+14], v6, v9             // Non-Nan case: add lsb and the increment for rounding
v_cndmask_b32 v[vgprValuC+14], v6, v8, s[54:55]    // 
v_lshrrev_b32 v[vgprValuC+14], 16, v[vgprValuC+14] // convert C to bf16
v_cmp_u_f32 s[54:55], v[vgprValuC+15], v[vgprValuC+15] // check Nan
v_bfe_u32 v6, v[vgprValuC+15], 16, 1               // Non-Nan case: store lsb of bf16
v_add3_u32 v6, v[vgprValuC+15], v6, v9             // Non-Nan case: add lsb and the increment for rounding
v_cndmask_b32 v[vgprValuC+15], v6, v8, s[54:55]    // 
v_and_or_b32 v14, v[vgprValuC+15], v7, v[vgprValuC+14] // pack two bf16 to dword
v_lshlrev_b32 v4, 16, v17                          // convert bf16 to fp32
_v_mac_f32 v[vgprValuC+18], v4, s[sgprBeta]        // finalSum = sum*alpha + C*beta
v_and_b32 v4, v17, v7                              // convert bf16 to fp32
_v_mac_f32 v[vgprValuC+19], v4, s[sgprBeta]        // finalSum = sum*alpha + C*beta
v_cmp_u_f32 s[54:55], v[vgprValuC+18], v[vgprValuC+18] // check Nan
v_bfe_u32 v6, v[vgprValuC+18], 16, 1               // Non-Nan case: store lsb of bf16
v_add3_u32 v6, v[vgprValuC+18], v6, v9             // Non-Nan case: add lsb and the increment for rounding
v_cndmask_b32 v[vgprValuC+18], v6, v8, s[54:55]    // 
v_lshrrev_b32 v[vgprValuC+18], 16, v[vgprValuC+18] // convert C to bf16
v_cmp_u_f32 s[54:55], v[vgprValuC+19], v[vgprValuC+19] // check Nan
v_bfe_u32 v6, v[vgprValuC+19], 16, 1               // Non-Nan case: store lsb of bf16
v_add3_u32 v6, v[vgprValuC+19], v6, v9             // Non-Nan case: add lsb and the increment for rounding
v_cndmask_b32 v[vgprValuC+19], v6, v8, s[54:55]    // 
v_and_or_b32 v18, v[vgprValuC+19], v7, v[vgprValuC+18] // pack two bf16 to dword
	;; [unrolled: 14-line block ×16, first 2 shown]
_buffer_store_b32 v14, v10, s[sgprSrdD:sgprSrdD+3], 0, offen, offset:0 // store D
_buffer_store_b32 v18, v13, s[sgprSrdD:sgprSrdD+3], 0, offen, offset:0 // store D
	;; [unrolled: 1-line block ×16, first 2 shown]
s_nop 0                                            // 1 wait state required when next inst writes vgprs held by previous dwordx4 store inst
/* optSingleColVgpr=0 optSharedColVgpr=0 optSGPRUsage=BufferLoad_Edge_Mask optSrdIncForRow=0 */
s_sleep 3 // optimization: sync and wait
s_barrier

/******************************************/
/* Global Write Alpha Beta Edge Batch #1 (d1,d0,vc1,vc0) = */
/*    (2,0,0,0:vw2); (2,1,0,0:vw2); (2,0,1,0:vw2); (2,1,1,0:vw2); (2,0,2,0:vw2); (2,1,2,0:vw2); (2,0,3,0:vw2); (2,1,3,0:vw2); (3,0,0,0:vw2); (3,1,0,0:vw2); (3,0,1,0:vw2); (3,1,1,0:vw2); (3,0,2,0:vw2); (3,1,2,0:vw2); (3,0,3,0:vw2); (3,1,3,0:vw2) */
/******************************************/

/* calc coords, apply mask, and issue loads (if necessary) */
/* (d1,vc1,d0,vc0)=(2,0,0,0) */
_v_add_co_u32 v1, vcc, v1, 5                       // coord1.1: coord1Vgpr += d1*sg1*VW + vc1

/* Fix for UseInitialStridesCD, emitAddressSetupCode */
s_mul_i32 s54, s[sgprStrideC1J], 5                 // scale stride
_v_add_u32 v2, v2, s54                             // ROWINC- Move cinRowPtr to next row
s_mul_i32 s54, s[sgprStrideD1J], 5                 // scale stride
_v_add_u32 v3, v3, s54                             // Move coutRowPtr to next row
v_cmp_lt_u32 s[54:55], v0, s[sgprSizeI]            // coord0 < size0
v_cmp_lt_u32 s[58:59], v1, s[sgprSizeJ]            // coord1 < size1
s_and_b64 s[58:59], s[54:55], s[58:59]             // in0 && in1
_v_add_lshl_u32 v11, v2, v0, 0x1                   // scaleToBpe: accumulate d0 lower and *= bpe into Cin addr
v_cndmask_b32 v11, -1, v11, s[58:59]               // LDC clip if OOB. offset
_v_add_lshl_u32 v10, v3, v0, 0x1                   // scaleToBpe: accumulate d0 lower and *= bpe into Cin addr
v_cndmask_b32 v10, -1, v10, s[58:59]               // LDD clip if OOB. offset
/* (d1,vc1,d0,vc0)=(2,0,1,0) */
s_mov_b32 s54, 128                                 // coordOffset0 d0=1 vc0=0
_v_add_co_u32 v4, vcc, v0, s54                     // coord0.2: coord0 += d0*sg0*VW + vc0
v_cmp_lt_u32 s[54:55], v4, s[sgprSizeI]            // coord0 < size0
v_cmp_lt_u32 s[58:59], v1, s[sgprSizeJ]            // coord1 < size1
s_and_b64 s[58:59], s[54:55], s[58:59]             // in0 && in1
_v_add_lshl_u32 v16, v2, v4, 0x1                   // scaleToBpe: accumulate d0 lower and *= bpe into Cin addr
v_cndmask_b32 v16, -1, v16, s[58:59]               // LDC clip if OOB. offset
_v_add_lshl_u32 v13, v3, v4, 0x1                   // scaleToBpe: accumulate d0 lower and *= bpe into Cin addr
v_cndmask_b32 v13, -1, v13, s[58:59]               // LDD clip if OOB. offset
/* (d1,vc1,d0,vc0)=(2,1,0,0) */
_v_add_co_u32 v1, vcc, v1, 1                       // coord1.1: coord1Vgpr += d1*sg1*VW + vc1

/* Fix for UseInitialStridesCD, emitAddressSetupCode */
_v_add_u32 v2, v2, s[sgprStrideC1J]                // ROWINC- Move cinRowPtr to next row
_v_add_u32 v3, v3, s[sgprStrideD1J]                // Move coutRowPtr to next row
v_cmp_lt_u32 s[54:55], v0, s[sgprSizeI]            // coord0 < size0
v_cmp_lt_u32 s[58:59], v1, s[sgprSizeJ]            // coord1 < size1
s_and_b64 s[58:59], s[54:55], s[58:59]             // in0 && in1
_v_add_lshl_u32 v21, v2, v0, 0x1                   // scaleToBpe: accumulate d0 lower and *= bpe into Cin addr
v_cndmask_b32 v21, -1, v21, s[58:59]               // LDC clip if OOB. offset
_v_add_lshl_u32 v20, v3, v0, 0x1                   // scaleToBpe: accumulate d0 lower and *= bpe into Cin addr
v_cndmask_b32 v20, -1, v20, s[58:59]               // LDD clip if OOB. offset
/* (d1,vc1,d0,vc0)=(2,1,1,0) */
s_mov_b32 s54, 128                                 // coordOffset0 d0=1 vc0=0
_v_add_co_u32 v4, vcc, v0, s54                     // coord0.2: coord0 += d0*sg0*VW + vc0
v_cmp_lt_u32 s[54:55], v4, s[sgprSizeI]            // coord0 < size0
v_cmp_lt_u32 s[58:59], v1, s[sgprSizeJ]            // coord1 < size1
s_and_b64 s[58:59], s[54:55], s[58:59]             // in0 && in1
_v_add_lshl_u32 v26, v2, v4, 0x1                   // scaleToBpe: accumulate d0 lower and *= bpe into Cin addr
v_cndmask_b32 v26, -1, v26, s[58:59]               // LDC clip if OOB. offset
_v_add_lshl_u32 v23, v3, v4, 0x1                   // scaleToBpe: accumulate d0 lower and *= bpe into Cin addr
v_cndmask_b32 v23, -1, v23, s[58:59]               // LDD clip if OOB. offset
/* (d1,vc1,d0,vc0)=(2,2,0,0) */
_v_add_co_u32 v1, vcc, v1, 1                       // coord1.1: coord1Vgpr += d1*sg1*VW + vc1

/* Fix for UseInitialStridesCD, emitAddressSetupCode */
_v_add_u32 v2, v2, s[sgprStrideC1J]                // ROWINC- Move cinRowPtr to next row
_v_add_u32 v3, v3, s[sgprStrideD1J]                // Move coutRowPtr to next row
	;; [unrolled: 23-line block ×3, first 2 shown]
v_cmp_lt_u32 s[54:55], v0, s[sgprSizeI]            // coord0 < size0
v_cmp_lt_u32 s[58:59], v1, s[sgprSizeJ]            // coord1 < size1
s_and_b64 s[58:59], s[54:55], s[58:59]             // in0 && in1
_v_add_lshl_u32 v41, v2, v0, 0x1                   // scaleToBpe: accumulate d0 lower and *= bpe into Cin addr
v_cndmask_b32 v41, -1, v41, s[58:59]               // LDC clip if OOB. offset
_v_add_lshl_u32 v40, v3, v0, 0x1                   // scaleToBpe: accumulate d0 lower and *= bpe into Cin addr
v_cndmask_b32 v40, -1, v40, s[58:59]               // LDD clip if OOB. offset
/* (d1,vc1,d0,vc0)=(2,3,1,0) */
s_mov_b32 s54, 128                                 // coordOffset0 d0=1 vc0=0
_v_add_co_u32 v4, vcc, v0, s54                     // coord0.2: coord0 += d0*sg0*VW + vc0
v_cmp_lt_u32 s[54:55], v4, s[sgprSizeI]            // coord0 < size0
v_cmp_lt_u32 s[58:59], v1, s[sgprSizeJ]            // coord1 < size1
s_and_b64 s[58:59], s[54:55], s[58:59]             // in0 && in1
_v_add_lshl_u32 v46, v2, v4, 0x1                   // scaleToBpe: accumulate d0 lower and *= bpe into Cin addr
v_cndmask_b32 v46, -1, v46, s[58:59]               // LDC clip if OOB. offset
_v_add_lshl_u32 v43, v3, v4, 0x1                   // scaleToBpe: accumulate d0 lower and *= bpe into Cin addr
v_cndmask_b32 v43, -1, v43, s[58:59]               // LDD clip if OOB. offset
/* (d1,vc1,d0,vc0)=(3,0,0,0) */
_v_add_co_u32 v1, vcc, v1, 5                       // coord1.1: coord1Vgpr += d1*sg1*VW + vc1

/* Fix for UseInitialStridesCD, emitAddressSetupCode */
s_mul_i32 s54, s[sgprStrideC1J], 5                 // scale stride
_v_add_u32 v2, v2, s54                             // ROWINC- Move cinRowPtr to next row
s_mul_i32 s54, s[sgprStrideD1J], 5                 // scale stride
_v_add_u32 v3, v3, s54                             // Move coutRowPtr to next row
v_cmp_lt_u32 s[54:55], v0, s[sgprSizeI]            // coord0 < size0
v_cmp_lt_u32 s[58:59], v1, s[sgprSizeJ]            // coord1 < size1
s_and_b64 s[58:59], s[54:55], s[58:59]             // in0 && in1
_v_add_lshl_u32 v51, v2, v0, 0x1                   // scaleToBpe: accumulate d0 lower and *= bpe into Cin addr
v_cndmask_b32 v51, -1, v51, s[58:59]               // LDC clip if OOB. offset
_v_add_lshl_u32 v50, v3, v0, 0x1                   // scaleToBpe: accumulate d0 lower and *= bpe into Cin addr
v_cndmask_b32 v50, -1, v50, s[58:59]               // LDD clip if OOB. offset
/* (d1,vc1,d0,vc0)=(3,0,1,0) */
s_mov_b32 s54, 128                                 // coordOffset0 d0=1 vc0=0
_v_add_co_u32 v4, vcc, v0, s54                     // coord0.2: coord0 += d0*sg0*VW + vc0
v_cmp_lt_u32 s[54:55], v4, s[sgprSizeI]            // coord0 < size0
v_cmp_lt_u32 s[58:59], v1, s[sgprSizeJ]            // coord1 < size1
s_and_b64 s[58:59], s[54:55], s[58:59]             // in0 && in1
_v_add_lshl_u32 v56, v2, v4, 0x1                   // scaleToBpe: accumulate d0 lower and *= bpe into Cin addr
v_cndmask_b32 v56, -1, v56, s[58:59]               // LDC clip if OOB. offset
_v_add_lshl_u32 v53, v3, v4, 0x1                   // scaleToBpe: accumulate d0 lower and *= bpe into Cin addr
v_cndmask_b32 v53, -1, v53, s[58:59]               // LDD clip if OOB. offset
/* (d1,vc1,d0,vc0)=(3,1,0,0) */
_v_add_co_u32 v1, vcc, v1, 1                       // coord1.1: coord1Vgpr += d1*sg1*VW + vc1

/* Fix for UseInitialStridesCD, emitAddressSetupCode */
_v_add_u32 v2, v2, s[sgprStrideC1J]                // ROWINC- Move cinRowPtr to next row
_v_add_u32 v3, v3, s[sgprStrideD1J]                // Move coutRowPtr to next row
v_cmp_lt_u32 s[54:55], v0, s[sgprSizeI]            // coord0 < size0
v_cmp_lt_u32 s[58:59], v1, s[sgprSizeJ]            // coord1 < size1
s_and_b64 s[58:59], s[54:55], s[58:59]             // in0 && in1
_v_add_lshl_u32 v61, v2, v0, 0x1                   // scaleToBpe: accumulate d0 lower and *= bpe into Cin addr
v_cndmask_b32 v61, -1, v61, s[58:59]               // LDC clip if OOB. offset
_v_add_lshl_u32 v60, v3, v0, 0x1                   // scaleToBpe: accumulate d0 lower and *= bpe into Cin addr
v_cndmask_b32 v60, -1, v60, s[58:59]               // LDD clip if OOB. offset
/* (d1,vc1,d0,vc0)=(3,1,1,0) */
s_mov_b32 s54, 128                                 // coordOffset0 d0=1 vc0=0
_v_add_co_u32 v4, vcc, v0, s54                     // coord0.2: coord0 += d0*sg0*VW + vc0
v_cmp_lt_u32 s[54:55], v4, s[sgprSizeI]            // coord0 < size0
v_cmp_lt_u32 s[58:59], v1, s[sgprSizeJ]            // coord1 < size1
s_and_b64 s[58:59], s[54:55], s[58:59]             // in0 && in1
_v_add_lshl_u32 v66, v2, v4, 0x1                   // scaleToBpe: accumulate d0 lower and *= bpe into Cin addr
v_cndmask_b32 v66, -1, v66, s[58:59]               // LDC clip if OOB. offset
_v_add_lshl_u32 v63, v3, v4, 0x1                   // scaleToBpe: accumulate d0 lower and *= bpe into Cin addr
v_cndmask_b32 v63, -1, v63, s[58:59]               // LDD clip if OOB. offset
/* (d1,vc1,d0,vc0)=(3,2,0,0) */
_v_add_co_u32 v1, vcc, v1, 1                       // coord1.1: coord1Vgpr += d1*sg1*VW + vc1

/* Fix for UseInitialStridesCD, emitAddressSetupCode */
_v_add_u32 v2, v2, s[sgprStrideC1J]                // ROWINC- Move cinRowPtr to next row
_v_add_u32 v3, v3, s[sgprStrideD1J]                // Move coutRowPtr to next row
	;; [unrolled: 23-line block ×3, first 2 shown]
v_cmp_lt_u32 s[54:55], v0, s[sgprSizeI]            // coord0 < size0
v_cmp_lt_u32 s[58:59], v1, s[sgprSizeJ]            // coord1 < size1
s_and_b64 s[58:59], s[54:55], s[58:59]             // in0 && in1
_v_add_lshl_u32 v81, v2, v0, 0x1                   // scaleToBpe: accumulate d0 lower and *= bpe into Cin addr
v_cndmask_b32 v81, -1, v81, s[58:59]               // LDC clip if OOB. offset
_v_add_lshl_u32 v80, v3, v0, 0x1                   // scaleToBpe: accumulate d0 lower and *= bpe into Cin addr
v_cndmask_b32 v80, -1, v80, s[58:59]               // LDD clip if OOB. offset
/* (d1,vc1,d0,vc0)=(3,3,1,0) */
s_mov_b32 s54, 128                                 // coordOffset0 d0=1 vc0=0
_v_add_co_u32 v4, vcc, v0, s54                     // coord0.2: coord0 += d0*sg0*VW + vc0
v_cmp_lt_u32 s[54:55], v4, s[sgprSizeI]            // coord0 < size0
v_cmp_lt_u32 s[58:59], v1, s[sgprSizeJ]            // coord1 < size1
s_and_b64 s[58:59], s[54:55], s[58:59]             // in0 && in1
_v_add_lshl_u32 v86, v2, v4, 0x1                   // scaleToBpe: accumulate d0 lower and *= bpe into Cin addr
v_cndmask_b32 v86, -1, v86, s[58:59]               // LDC clip if OOB. offset
_v_add_lshl_u32 v83, v3, v4, 0x1                   // scaleToBpe: accumulate d0 lower and *= bpe into Cin addr
v_cndmask_b32 v83, -1, v83, s[58:59]               // LDD clip if OOB. offset
_buffer_load_b32 v12, v11, s[sgprSrdC:sgprSrdC+3], 0, offen offset:0 // load C for beta calc
_buffer_load_b32 v17, v16, s[sgprSrdC:sgprSrdC+3], 0, offen offset:0 // load C for beta calc
	;; [unrolled: 1-line block ×16, first 2 shown]
s_sleep 3 // optimization: sync and wait
s_barrier
v_accvgpr_read_b32 v[vgprValuC+14], acc8 // copy acc to vreg[32]
v_accvgpr_read_b32 v[vgprValuC+15], acc24 // copy acc to vreg[33]
v_accvgpr_read_b32 v[vgprValuC+18], acc40 // copy acc to vreg[34]
v_accvgpr_read_b32 v[vgprValuC+19], acc56 // copy acc to vreg[35]
v_accvgpr_read_b32 v[vgprValuC+24], acc9 // copy acc to vreg[36]
v_accvgpr_read_b32 v[vgprValuC+25], acc25 // copy acc to vreg[37]
v_accvgpr_read_b32 v[vgprValuC+28], acc41 // copy acc to vreg[38]
v_accvgpr_read_b32 v[vgprValuC+29], acc57 // copy acc to vreg[39]
v_accvgpr_read_b32 v[vgprValuC+34], acc10 // copy acc to vreg[40]
v_accvgpr_read_b32 v[vgprValuC+35], acc26 // copy acc to vreg[41]
v_accvgpr_read_b32 v[vgprValuC+38], acc42 // copy acc to vreg[42]
v_accvgpr_read_b32 v[vgprValuC+39], acc58 // copy acc to vreg[43]
v_accvgpr_read_b32 v[vgprValuC+44], acc11 // copy acc to vreg[44]
v_accvgpr_read_b32 v[vgprValuC+45], acc27 // copy acc to vreg[45]
v_accvgpr_read_b32 v[vgprValuC+48], acc43 // copy acc to vreg[46]
v_accvgpr_read_b32 v[vgprValuC+49], acc59 // copy acc to vreg[47]
v_accvgpr_read_b32 v[vgprValuC+54], acc12 // copy acc to vreg[48]
v_accvgpr_read_b32 v[vgprValuC+55], acc28 // copy acc to vreg[49]
v_accvgpr_read_b32 v[vgprValuC+58], acc44 // copy acc to vreg[50]
v_accvgpr_read_b32 v[vgprValuC+59], acc60 // copy acc to vreg[51]
v_accvgpr_read_b32 v[vgprValuC+64], acc13 // copy acc to vreg[52]
v_accvgpr_read_b32 v[vgprValuC+65], acc29 // copy acc to vreg[53]
v_accvgpr_read_b32 v[vgprValuC+68], acc45 // copy acc to vreg[54]
v_accvgpr_read_b32 v[vgprValuC+69], acc61 // copy acc to vreg[55]
v_accvgpr_read_b32 v[vgprValuC+74], acc14 // copy acc to vreg[56]
v_accvgpr_read_b32 v[vgprValuC+75], acc30 // copy acc to vreg[57]
v_accvgpr_read_b32 v[vgprValuC+78], acc46 // copy acc to vreg[58]
v_accvgpr_read_b32 v[vgprValuC+79], acc62 // copy acc to vreg[59]
v_accvgpr_read_b32 v[vgprValuC+84], acc15 // copy acc to vreg[60]
v_accvgpr_read_b32 v[vgprValuC+85], acc31 // copy acc to vreg[61]
v_accvgpr_read_b32 v[vgprValuC+88], acc47 // copy acc to vreg[62]
v_accvgpr_read_b32 v[vgprValuC+89], acc63 // copy acc to vreg[63]
s_nop 1                                            // 2 wait states required before reading vgpr

/* rC *= alpha batchElements=[(2, 0, 0, 0), (2, 1, 0, 0), (2, 0, 1, 0), (2, 1, 1, 0), (2, 0, 2, 0), (2, 1, 2, 0), (2, 0, 3, 0), (2, 1, 3, 0), (3, 0, 0, 0), (3, 1, 0, 0), (3, 0, 1, 0), (3, 1, 1, 0), (3, 0, 2, 0), (3, 1, 2, 0), (3, 0, 3, 0), (3, 1, 3, 0)] */
v_mul_f32 v[vgprValuC+14], s[sgprAlpha], v[vgprValuC+14] // *= alpha
v_mul_f32 v[vgprValuC+15], s[sgprAlpha], v[vgprValuC+15] // *= alpha
	;; [unrolled: 1-line block ×32, first 2 shown]
s_waitcnt vmcnt(0)                                 // wait C

/* apply mask, calc new C and issue writes */
v_mov_b32 v7, 0xffff0000                           // mask for pack two bfloat16 element to 32bit
v_mov_b32 v8, 0x7fff0000                           // fp32 Nan
v_mov_b32 v9, 0x7fff                               // rounding bias for bfloat16
v_lshlrev_b32 v4, 16, v12                          // convert bf16 to fp32
_v_mac_f32 v[vgprValuC+14], v4, s[sgprBeta]        // finalSum = sum*alpha + C*beta
v_and_b32 v4, v12, v7                              // convert bf16 to fp32
_v_mac_f32 v[vgprValuC+15], v4, s[sgprBeta]        // finalSum = sum*alpha + C*beta
v_cmp_u_f32 s[54:55], v[vgprValuC+14], v[vgprValuC+14] // check Nan
v_bfe_u32 v6, v[vgprValuC+14], 16, 1               // Non-Nan case: store lsb of bf16
v_add3_u32 v6, v[vgprValuC+14], v6, v9             // Non-Nan case: add lsb and the increment for rounding
v_cndmask_b32 v[vgprValuC+14], v6, v8, s[54:55]    // 
v_lshrrev_b32 v[vgprValuC+14], 16, v[vgprValuC+14] // convert C to bf16
v_cmp_u_f32 s[54:55], v[vgprValuC+15], v[vgprValuC+15] // check Nan
v_bfe_u32 v6, v[vgprValuC+15], 16, 1               // Non-Nan case: store lsb of bf16
v_add3_u32 v6, v[vgprValuC+15], v6, v9             // Non-Nan case: add lsb and the increment for rounding
v_cndmask_b32 v[vgprValuC+15], v6, v8, s[54:55]    // 
v_and_or_b32 v14, v[vgprValuC+15], v7, v[vgprValuC+14] // pack two bf16 to dword
v_lshlrev_b32 v4, 16, v17                          // convert bf16 to fp32
_v_mac_f32 v[vgprValuC+18], v4, s[sgprBeta]        // finalSum = sum*alpha + C*beta
v_and_b32 v4, v17, v7                              // convert bf16 to fp32
_v_mac_f32 v[vgprValuC+19], v4, s[sgprBeta]        // finalSum = sum*alpha + C*beta
v_cmp_u_f32 s[54:55], v[vgprValuC+18], v[vgprValuC+18] // check Nan
v_bfe_u32 v6, v[vgprValuC+18], 16, 1               // Non-Nan case: store lsb of bf16
v_add3_u32 v6, v[vgprValuC+18], v6, v9             // Non-Nan case: add lsb and the increment for rounding
v_cndmask_b32 v[vgprValuC+18], v6, v8, s[54:55]    // 
v_lshrrev_b32 v[vgprValuC+18], 16, v[vgprValuC+18] // convert C to bf16
v_cmp_u_f32 s[54:55], v[vgprValuC+19], v[vgprValuC+19] // check Nan
v_bfe_u32 v6, v[vgprValuC+19], 16, 1               // Non-Nan case: store lsb of bf16
v_add3_u32 v6, v[vgprValuC+19], v6, v9             // Non-Nan case: add lsb and the increment for rounding
v_cndmask_b32 v[vgprValuC+19], v6, v8, s[54:55]    // 
v_and_or_b32 v18, v[vgprValuC+19], v7, v[vgprValuC+18] // pack two bf16 to dword
	;; [unrolled: 14-line block ×16, first 2 shown]
_buffer_store_b32 v14, v10, s[sgprSrdD:sgprSrdD+3], 0, offen, offset:0 // store D
_buffer_store_b32 v18, v13, s[sgprSrdD:sgprSrdD+3], 0, offen, offset:0 // store D
	;; [unrolled: 1-line block ×16, first 2 shown]
s_nop 0                                            // 1 wait state required when next inst writes vgprs held by previous dwordx4 store inst
/* optSingleColVgpr=0 optSharedColVgpr=0 optSGPRUsage=BufferLoad_Edge_Mask optSrdIncForRow=0 */
s_sleep 3 // optimization: sync and wait
s_barrier

/******************************************/
/* Global Write Alpha Beta Edge Batch #2 (d1,d0,vc1,vc0) = */
/*    (4,0,0,0:vw2); (4,1,0,0:vw2); (4,0,1,0:vw2); (4,1,1,0:vw2); (4,0,2,0:vw2); (4,1,2,0:vw2); (4,0,3,0:vw2); (4,1,3,0:vw2); (5,0,0,0:vw2); (5,1,0,0:vw2); (5,0,1,0:vw2); (5,1,1,0:vw2); (5,0,2,0:vw2); (5,1,2,0:vw2); (5,0,3,0:vw2); (5,1,3,0:vw2) */
/******************************************/

/* calc coords, apply mask, and issue loads (if necessary) */
/* (d1,vc1,d0,vc0)=(4,0,0,0) */
_v_add_co_u32 v1, vcc, v1, 37                      // coord1.1: coord1Vgpr += d1*sg1*VW + vc1

/* Fix for UseInitialStridesCD, emitAddressSetupCode */
s_mul_i32 s54, s[sgprStrideC1J], 37                // scale stride
_v_add_u32 v2, v2, s54                             // ROWINC- Move cinRowPtr to next row
s_mul_i32 s54, s[sgprStrideD1J], 37                // scale stride
_v_add_u32 v3, v3, s54                             // Move coutRowPtr to next row
v_cmp_lt_u32 s[54:55], v0, s[sgprSizeI]            // coord0 < size0
v_cmp_lt_u32 s[58:59], v1, s[sgprSizeJ]            // coord1 < size1
s_and_b64 s[58:59], s[54:55], s[58:59]             // in0 && in1
_v_add_lshl_u32 v11, v2, v0, 0x1                   // scaleToBpe: accumulate d0 lower and *= bpe into Cin addr
v_cndmask_b32 v11, -1, v11, s[58:59]               // LDC clip if OOB. offset
_v_add_lshl_u32 v10, v3, v0, 0x1                   // scaleToBpe: accumulate d0 lower and *= bpe into Cin addr
v_cndmask_b32 v10, -1, v10, s[58:59]               // LDD clip if OOB. offset
/* (d1,vc1,d0,vc0)=(4,0,1,0) */
s_mov_b32 s54, 128                                 // coordOffset0 d0=1 vc0=0
_v_add_co_u32 v4, vcc, v0, s54                     // coord0.2: coord0 += d0*sg0*VW + vc0
v_cmp_lt_u32 s[54:55], v4, s[sgprSizeI]            // coord0 < size0
v_cmp_lt_u32 s[58:59], v1, s[sgprSizeJ]            // coord1 < size1
s_and_b64 s[58:59], s[54:55], s[58:59]             // in0 && in1
_v_add_lshl_u32 v16, v2, v4, 0x1                   // scaleToBpe: accumulate d0 lower and *= bpe into Cin addr
v_cndmask_b32 v16, -1, v16, s[58:59]               // LDC clip if OOB. offset
_v_add_lshl_u32 v13, v3, v4, 0x1                   // scaleToBpe: accumulate d0 lower and *= bpe into Cin addr
v_cndmask_b32 v13, -1, v13, s[58:59]               // LDD clip if OOB. offset
/* (d1,vc1,d0,vc0)=(4,1,0,0) */
_v_add_co_u32 v1, vcc, v1, 1                       // coord1.1: coord1Vgpr += d1*sg1*VW + vc1

/* Fix for UseInitialStridesCD, emitAddressSetupCode */
_v_add_u32 v2, v2, s[sgprStrideC1J]                // ROWINC- Move cinRowPtr to next row
_v_add_u32 v3, v3, s[sgprStrideD1J]                // Move coutRowPtr to next row
v_cmp_lt_u32 s[54:55], v0, s[sgprSizeI]            // coord0 < size0
v_cmp_lt_u32 s[58:59], v1, s[sgprSizeJ]            // coord1 < size1
s_and_b64 s[58:59], s[54:55], s[58:59]             // in0 && in1
_v_add_lshl_u32 v21, v2, v0, 0x1                   // scaleToBpe: accumulate d0 lower and *= bpe into Cin addr
v_cndmask_b32 v21, -1, v21, s[58:59]               // LDC clip if OOB. offset
_v_add_lshl_u32 v20, v3, v0, 0x1                   // scaleToBpe: accumulate d0 lower and *= bpe into Cin addr
v_cndmask_b32 v20, -1, v20, s[58:59]               // LDD clip if OOB. offset
/* (d1,vc1,d0,vc0)=(4,1,1,0) */
s_mov_b32 s54, 128                                 // coordOffset0 d0=1 vc0=0
_v_add_co_u32 v4, vcc, v0, s54                     // coord0.2: coord0 += d0*sg0*VW + vc0
v_cmp_lt_u32 s[54:55], v4, s[sgprSizeI]            // coord0 < size0
v_cmp_lt_u32 s[58:59], v1, s[sgprSizeJ]            // coord1 < size1
s_and_b64 s[58:59], s[54:55], s[58:59]             // in0 && in1
_v_add_lshl_u32 v26, v2, v4, 0x1                   // scaleToBpe: accumulate d0 lower and *= bpe into Cin addr
v_cndmask_b32 v26, -1, v26, s[58:59]               // LDC clip if OOB. offset
_v_add_lshl_u32 v23, v3, v4, 0x1                   // scaleToBpe: accumulate d0 lower and *= bpe into Cin addr
v_cndmask_b32 v23, -1, v23, s[58:59]               // LDD clip if OOB. offset
/* (d1,vc1,d0,vc0)=(4,2,0,0) */
_v_add_co_u32 v1, vcc, v1, 1                       // coord1.1: coord1Vgpr += d1*sg1*VW + vc1

/* Fix for UseInitialStridesCD, emitAddressSetupCode */
_v_add_u32 v2, v2, s[sgprStrideC1J]                // ROWINC- Move cinRowPtr to next row
_v_add_u32 v3, v3, s[sgprStrideD1J]                // Move coutRowPtr to next row
	;; [unrolled: 23-line block ×3, first 2 shown]
v_cmp_lt_u32 s[54:55], v0, s[sgprSizeI]            // coord0 < size0
v_cmp_lt_u32 s[58:59], v1, s[sgprSizeJ]            // coord1 < size1
s_and_b64 s[58:59], s[54:55], s[58:59]             // in0 && in1
_v_add_lshl_u32 v41, v2, v0, 0x1                   // scaleToBpe: accumulate d0 lower and *= bpe into Cin addr
v_cndmask_b32 v41, -1, v41, s[58:59]               // LDC clip if OOB. offset
_v_add_lshl_u32 v40, v3, v0, 0x1                   // scaleToBpe: accumulate d0 lower and *= bpe into Cin addr
v_cndmask_b32 v40, -1, v40, s[58:59]               // LDD clip if OOB. offset
/* (d1,vc1,d0,vc0)=(4,3,1,0) */
s_mov_b32 s54, 128                                 // coordOffset0 d0=1 vc0=0
_v_add_co_u32 v4, vcc, v0, s54                     // coord0.2: coord0 += d0*sg0*VW + vc0
v_cmp_lt_u32 s[54:55], v4, s[sgprSizeI]            // coord0 < size0
v_cmp_lt_u32 s[58:59], v1, s[sgprSizeJ]            // coord1 < size1
s_and_b64 s[58:59], s[54:55], s[58:59]             // in0 && in1
_v_add_lshl_u32 v46, v2, v4, 0x1                   // scaleToBpe: accumulate d0 lower and *= bpe into Cin addr
v_cndmask_b32 v46, -1, v46, s[58:59]               // LDC clip if OOB. offset
_v_add_lshl_u32 v43, v3, v4, 0x1                   // scaleToBpe: accumulate d0 lower and *= bpe into Cin addr
v_cndmask_b32 v43, -1, v43, s[58:59]               // LDD clip if OOB. offset
/* (d1,vc1,d0,vc0)=(5,0,0,0) */
_v_add_co_u32 v1, vcc, v1, 5                       // coord1.1: coord1Vgpr += d1*sg1*VW + vc1

/* Fix for UseInitialStridesCD, emitAddressSetupCode */
s_mul_i32 s54, s[sgprStrideC1J], 5                 // scale stride
_v_add_u32 v2, v2, s54                             // ROWINC- Move cinRowPtr to next row
s_mul_i32 s54, s[sgprStrideD1J], 5                 // scale stride
_v_add_u32 v3, v3, s54                             // Move coutRowPtr to next row
v_cmp_lt_u32 s[54:55], v0, s[sgprSizeI]            // coord0 < size0
v_cmp_lt_u32 s[58:59], v1, s[sgprSizeJ]            // coord1 < size1
s_and_b64 s[58:59], s[54:55], s[58:59]             // in0 && in1
_v_add_lshl_u32 v51, v2, v0, 0x1                   // scaleToBpe: accumulate d0 lower and *= bpe into Cin addr
v_cndmask_b32 v51, -1, v51, s[58:59]               // LDC clip if OOB. offset
_v_add_lshl_u32 v50, v3, v0, 0x1                   // scaleToBpe: accumulate d0 lower and *= bpe into Cin addr
v_cndmask_b32 v50, -1, v50, s[58:59]               // LDD clip if OOB. offset
/* (d1,vc1,d0,vc0)=(5,0,1,0) */
s_mov_b32 s54, 128                                 // coordOffset0 d0=1 vc0=0
_v_add_co_u32 v4, vcc, v0, s54                     // coord0.2: coord0 += d0*sg0*VW + vc0
v_cmp_lt_u32 s[54:55], v4, s[sgprSizeI]            // coord0 < size0
v_cmp_lt_u32 s[58:59], v1, s[sgprSizeJ]            // coord1 < size1
s_and_b64 s[58:59], s[54:55], s[58:59]             // in0 && in1
_v_add_lshl_u32 v56, v2, v4, 0x1                   // scaleToBpe: accumulate d0 lower and *= bpe into Cin addr
v_cndmask_b32 v56, -1, v56, s[58:59]               // LDC clip if OOB. offset
_v_add_lshl_u32 v53, v3, v4, 0x1                   // scaleToBpe: accumulate d0 lower and *= bpe into Cin addr
v_cndmask_b32 v53, -1, v53, s[58:59]               // LDD clip if OOB. offset
/* (d1,vc1,d0,vc0)=(5,1,0,0) */
_v_add_co_u32 v1, vcc, v1, 1                       // coord1.1: coord1Vgpr += d1*sg1*VW + vc1

/* Fix for UseInitialStridesCD, emitAddressSetupCode */
_v_add_u32 v2, v2, s[sgprStrideC1J]                // ROWINC- Move cinRowPtr to next row
_v_add_u32 v3, v3, s[sgprStrideD1J]                // Move coutRowPtr to next row
v_cmp_lt_u32 s[54:55], v0, s[sgprSizeI]            // coord0 < size0
v_cmp_lt_u32 s[58:59], v1, s[sgprSizeJ]            // coord1 < size1
s_and_b64 s[58:59], s[54:55], s[58:59]             // in0 && in1
_v_add_lshl_u32 v61, v2, v0, 0x1                   // scaleToBpe: accumulate d0 lower and *= bpe into Cin addr
v_cndmask_b32 v61, -1, v61, s[58:59]               // LDC clip if OOB. offset
_v_add_lshl_u32 v60, v3, v0, 0x1                   // scaleToBpe: accumulate d0 lower and *= bpe into Cin addr
v_cndmask_b32 v60, -1, v60, s[58:59]               // LDD clip if OOB. offset
/* (d1,vc1,d0,vc0)=(5,1,1,0) */
s_mov_b32 s54, 128                                 // coordOffset0 d0=1 vc0=0
_v_add_co_u32 v4, vcc, v0, s54                     // coord0.2: coord0 += d0*sg0*VW + vc0
v_cmp_lt_u32 s[54:55], v4, s[sgprSizeI]            // coord0 < size0
v_cmp_lt_u32 s[58:59], v1, s[sgprSizeJ]            // coord1 < size1
s_and_b64 s[58:59], s[54:55], s[58:59]             // in0 && in1
_v_add_lshl_u32 v66, v2, v4, 0x1                   // scaleToBpe: accumulate d0 lower and *= bpe into Cin addr
v_cndmask_b32 v66, -1, v66, s[58:59]               // LDC clip if OOB. offset
_v_add_lshl_u32 v63, v3, v4, 0x1                   // scaleToBpe: accumulate d0 lower and *= bpe into Cin addr
v_cndmask_b32 v63, -1, v63, s[58:59]               // LDD clip if OOB. offset
/* (d1,vc1,d0,vc0)=(5,2,0,0) */
_v_add_co_u32 v1, vcc, v1, 1                       // coord1.1: coord1Vgpr += d1*sg1*VW + vc1

/* Fix for UseInitialStridesCD, emitAddressSetupCode */
_v_add_u32 v2, v2, s[sgprStrideC1J]                // ROWINC- Move cinRowPtr to next row
_v_add_u32 v3, v3, s[sgprStrideD1J]                // Move coutRowPtr to next row
	;; [unrolled: 23-line block ×3, first 2 shown]
v_cmp_lt_u32 s[54:55], v0, s[sgprSizeI]            // coord0 < size0
v_cmp_lt_u32 s[58:59], v1, s[sgprSizeJ]            // coord1 < size1
s_and_b64 s[58:59], s[54:55], s[58:59]             // in0 && in1
_v_add_lshl_u32 v81, v2, v0, 0x1                   // scaleToBpe: accumulate d0 lower and *= bpe into Cin addr
v_cndmask_b32 v81, -1, v81, s[58:59]               // LDC clip if OOB. offset
_v_add_lshl_u32 v80, v3, v0, 0x1                   // scaleToBpe: accumulate d0 lower and *= bpe into Cin addr
v_cndmask_b32 v80, -1, v80, s[58:59]               // LDD clip if OOB. offset
/* (d1,vc1,d0,vc0)=(5,3,1,0) */
s_mov_b32 s54, 128                                 // coordOffset0 d0=1 vc0=0
_v_add_co_u32 v4, vcc, v0, s54                     // coord0.2: coord0 += d0*sg0*VW + vc0
v_cmp_lt_u32 s[54:55], v4, s[sgprSizeI]            // coord0 < size0
v_cmp_lt_u32 s[58:59], v1, s[sgprSizeJ]            // coord1 < size1
s_and_b64 s[58:59], s[54:55], s[58:59]             // in0 && in1
_v_add_lshl_u32 v86, v2, v4, 0x1                   // scaleToBpe: accumulate d0 lower and *= bpe into Cin addr
v_cndmask_b32 v86, -1, v86, s[58:59]               // LDC clip if OOB. offset
_v_add_lshl_u32 v83, v3, v4, 0x1                   // scaleToBpe: accumulate d0 lower and *= bpe into Cin addr
v_cndmask_b32 v83, -1, v83, s[58:59]               // LDD clip if OOB. offset
_buffer_load_b32 v12, v11, s[sgprSrdC:sgprSrdC+3], 0, offen offset:0 // load C for beta calc
_buffer_load_b32 v17, v16, s[sgprSrdC:sgprSrdC+3], 0, offen offset:0 // load C for beta calc
	;; [unrolled: 1-line block ×16, first 2 shown]
s_sleep 3 // optimization: sync and wait
s_barrier
v_accvgpr_read_b32 v[vgprValuC+14], acc64 // copy acc to vreg[64]
v_accvgpr_read_b32 v[vgprValuC+15], acc80 // copy acc to vreg[65]
v_accvgpr_read_b32 v[vgprValuC+18], acc96 // copy acc to vreg[66]
v_accvgpr_read_b32 v[vgprValuC+19], acc112 // copy acc to vreg[67]
v_accvgpr_read_b32 v[vgprValuC+24], acc65 // copy acc to vreg[68]
v_accvgpr_read_b32 v[vgprValuC+25], acc81 // copy acc to vreg[69]
v_accvgpr_read_b32 v[vgprValuC+28], acc97 // copy acc to vreg[70]
v_accvgpr_read_b32 v[vgprValuC+29], acc113 // copy acc to vreg[71]
v_accvgpr_read_b32 v[vgprValuC+34], acc66 // copy acc to vreg[72]
v_accvgpr_read_b32 v[vgprValuC+35], acc82 // copy acc to vreg[73]
v_accvgpr_read_b32 v[vgprValuC+38], acc98 // copy acc to vreg[74]
v_accvgpr_read_b32 v[vgprValuC+39], acc114 // copy acc to vreg[75]
v_accvgpr_read_b32 v[vgprValuC+44], acc67 // copy acc to vreg[76]
v_accvgpr_read_b32 v[vgprValuC+45], acc83 // copy acc to vreg[77]
v_accvgpr_read_b32 v[vgprValuC+48], acc99 // copy acc to vreg[78]
v_accvgpr_read_b32 v[vgprValuC+49], acc115 // copy acc to vreg[79]
v_accvgpr_read_b32 v[vgprValuC+54], acc68 // copy acc to vreg[80]
v_accvgpr_read_b32 v[vgprValuC+55], acc84 // copy acc to vreg[81]
v_accvgpr_read_b32 v[vgprValuC+58], acc100 // copy acc to vreg[82]
v_accvgpr_read_b32 v[vgprValuC+59], acc116 // copy acc to vreg[83]
v_accvgpr_read_b32 v[vgprValuC+64], acc69 // copy acc to vreg[84]
v_accvgpr_read_b32 v[vgprValuC+65], acc85 // copy acc to vreg[85]
v_accvgpr_read_b32 v[vgprValuC+68], acc101 // copy acc to vreg[86]
v_accvgpr_read_b32 v[vgprValuC+69], acc117 // copy acc to vreg[87]
v_accvgpr_read_b32 v[vgprValuC+74], acc70 // copy acc to vreg[88]
v_accvgpr_read_b32 v[vgprValuC+75], acc86 // copy acc to vreg[89]
v_accvgpr_read_b32 v[vgprValuC+78], acc102 // copy acc to vreg[90]
v_accvgpr_read_b32 v[vgprValuC+79], acc118 // copy acc to vreg[91]
v_accvgpr_read_b32 v[vgprValuC+84], acc71 // copy acc to vreg[92]
v_accvgpr_read_b32 v[vgprValuC+85], acc87 // copy acc to vreg[93]
v_accvgpr_read_b32 v[vgprValuC+88], acc103 // copy acc to vreg[94]
v_accvgpr_read_b32 v[vgprValuC+89], acc119 // copy acc to vreg[95]
s_nop 1                                            // 2 wait states required before reading vgpr

/* rC *= alpha batchElements=[(4, 0, 0, 0), (4, 1, 0, 0), (4, 0, 1, 0), (4, 1, 1, 0), (4, 0, 2, 0), (4, 1, 2, 0), (4, 0, 3, 0), (4, 1, 3, 0), (5, 0, 0, 0), (5, 1, 0, 0), (5, 0, 1, 0), (5, 1, 1, 0), (5, 0, 2, 0), (5, 1, 2, 0), (5, 0, 3, 0), (5, 1, 3, 0)] */
v_mul_f32 v[vgprValuC+14], s[sgprAlpha], v[vgprValuC+14] // *= alpha
v_mul_f32 v[vgprValuC+15], s[sgprAlpha], v[vgprValuC+15] // *= alpha
	;; [unrolled: 1-line block ×32, first 2 shown]
s_waitcnt vmcnt(0)                                 // wait C

/* apply mask, calc new C and issue writes */
v_mov_b32 v7, 0xffff0000                           // mask for pack two bfloat16 element to 32bit
v_mov_b32 v8, 0x7fff0000                           // fp32 Nan
v_mov_b32 v9, 0x7fff                               // rounding bias for bfloat16
v_lshlrev_b32 v4, 16, v12                          // convert bf16 to fp32
_v_mac_f32 v[vgprValuC+14], v4, s[sgprBeta]        // finalSum = sum*alpha + C*beta
v_and_b32 v4, v12, v7                              // convert bf16 to fp32
_v_mac_f32 v[vgprValuC+15], v4, s[sgprBeta]        // finalSum = sum*alpha + C*beta
v_cmp_u_f32 s[54:55], v[vgprValuC+14], v[vgprValuC+14] // check Nan
v_bfe_u32 v6, v[vgprValuC+14], 16, 1               // Non-Nan case: store lsb of bf16
v_add3_u32 v6, v[vgprValuC+14], v6, v9             // Non-Nan case: add lsb and the increment for rounding
v_cndmask_b32 v[vgprValuC+14], v6, v8, s[54:55]    // 
v_lshrrev_b32 v[vgprValuC+14], 16, v[vgprValuC+14] // convert C to bf16
v_cmp_u_f32 s[54:55], v[vgprValuC+15], v[vgprValuC+15] // check Nan
v_bfe_u32 v6, v[vgprValuC+15], 16, 1               // Non-Nan case: store lsb of bf16
v_add3_u32 v6, v[vgprValuC+15], v6, v9             // Non-Nan case: add lsb and the increment for rounding
v_cndmask_b32 v[vgprValuC+15], v6, v8, s[54:55]    // 
v_and_or_b32 v14, v[vgprValuC+15], v7, v[vgprValuC+14] // pack two bf16 to dword
v_lshlrev_b32 v4, 16, v17                          // convert bf16 to fp32
_v_mac_f32 v[vgprValuC+18], v4, s[sgprBeta]        // finalSum = sum*alpha + C*beta
v_and_b32 v4, v17, v7                              // convert bf16 to fp32
_v_mac_f32 v[vgprValuC+19], v4, s[sgprBeta]        // finalSum = sum*alpha + C*beta
v_cmp_u_f32 s[54:55], v[vgprValuC+18], v[vgprValuC+18] // check Nan
v_bfe_u32 v6, v[vgprValuC+18], 16, 1               // Non-Nan case: store lsb of bf16
v_add3_u32 v6, v[vgprValuC+18], v6, v9             // Non-Nan case: add lsb and the increment for rounding
v_cndmask_b32 v[vgprValuC+18], v6, v8, s[54:55]    // 
v_lshrrev_b32 v[vgprValuC+18], 16, v[vgprValuC+18] // convert C to bf16
v_cmp_u_f32 s[54:55], v[vgprValuC+19], v[vgprValuC+19] // check Nan
v_bfe_u32 v6, v[vgprValuC+19], 16, 1               // Non-Nan case: store lsb of bf16
v_add3_u32 v6, v[vgprValuC+19], v6, v9             // Non-Nan case: add lsb and the increment for rounding
v_cndmask_b32 v[vgprValuC+19], v6, v8, s[54:55]    // 
v_and_or_b32 v18, v[vgprValuC+19], v7, v[vgprValuC+18] // pack two bf16 to dword
	;; [unrolled: 14-line block ×16, first 2 shown]
_buffer_store_b32 v14, v10, s[sgprSrdD:sgprSrdD+3], 0, offen, offset:0 // store D
_buffer_store_b32 v18, v13, s[sgprSrdD:sgprSrdD+3], 0, offen, offset:0 // store D
	;; [unrolled: 1-line block ×16, first 2 shown]
s_nop 0                                            // 1 wait state required when next inst writes vgprs held by previous dwordx4 store inst
/* optSingleColVgpr=0 optSharedColVgpr=0 optSGPRUsage=BufferLoad_Edge_Mask optSrdIncForRow=0 */
s_sleep 3 // optimization: sync and wait
s_barrier

/******************************************/
/* Global Write Alpha Beta Edge Batch #3 (d1,d0,vc1,vc0) = */
/*    (6,0,0,0:vw2); (6,1,0,0:vw2); (6,0,1,0:vw2); (6,1,1,0:vw2); (6,0,2,0:vw2); (6,1,2,0:vw2); (6,0,3,0:vw2); (6,1,3,0:vw2); (7,0,0,0:vw2); (7,1,0,0:vw2); (7,0,1,0:vw2); (7,1,1,0:vw2); (7,0,2,0:vw2); (7,1,2,0:vw2); (7,0,3,0:vw2); (7,1,3,0:vw2) */
/******************************************/

/* calc coords, apply mask, and issue loads (if necessary) */
/* (d1,vc1,d0,vc0)=(6,0,0,0) */
_v_add_co_u32 v1, vcc, v1, 5                       // coord1.1: coord1Vgpr += d1*sg1*VW + vc1

/* Fix for UseInitialStridesCD, emitAddressSetupCode */
s_mul_i32 s54, s[sgprStrideC1J], 5                 // scale stride
_v_add_u32 v2, v2, s54                             // ROWINC- Move cinRowPtr to next row
s_mul_i32 s54, s[sgprStrideD1J], 5                 // scale stride
_v_add_u32 v3, v3, s54                             // Move coutRowPtr to next row
v_cmp_lt_u32 s[54:55], v0, s[sgprSizeI]            // coord0 < size0
v_cmp_lt_u32 s[58:59], v1, s[sgprSizeJ]            // coord1 < size1
s_and_b64 s[58:59], s[54:55], s[58:59]             // in0 && in1
_v_add_lshl_u32 v11, v2, v0, 0x1                   // scaleToBpe: accumulate d0 lower and *= bpe into Cin addr
v_cndmask_b32 v11, -1, v11, s[58:59]               // LDC clip if OOB. offset
_v_add_lshl_u32 v10, v3, v0, 0x1                   // scaleToBpe: accumulate d0 lower and *= bpe into Cin addr
v_cndmask_b32 v10, -1, v10, s[58:59]               // LDD clip if OOB. offset
/* (d1,vc1,d0,vc0)=(6,0,1,0) */
s_mov_b32 s54, 128                                 // coordOffset0 d0=1 vc0=0
_v_add_co_u32 v4, vcc, v0, s54                     // coord0.2: coord0 += d0*sg0*VW + vc0
v_cmp_lt_u32 s[54:55], v4, s[sgprSizeI]            // coord0 < size0
v_cmp_lt_u32 s[58:59], v1, s[sgprSizeJ]            // coord1 < size1
s_and_b64 s[58:59], s[54:55], s[58:59]             // in0 && in1
_v_add_lshl_u32 v16, v2, v4, 0x1                   // scaleToBpe: accumulate d0 lower and *= bpe into Cin addr
v_cndmask_b32 v16, -1, v16, s[58:59]               // LDC clip if OOB. offset
_v_add_lshl_u32 v13, v3, v4, 0x1                   // scaleToBpe: accumulate d0 lower and *= bpe into Cin addr
v_cndmask_b32 v13, -1, v13, s[58:59]               // LDD clip if OOB. offset
/* (d1,vc1,d0,vc0)=(6,1,0,0) */
_v_add_co_u32 v1, vcc, v1, 1                       // coord1.1: coord1Vgpr += d1*sg1*VW + vc1

/* Fix for UseInitialStridesCD, emitAddressSetupCode */
_v_add_u32 v2, v2, s[sgprStrideC1J]                // ROWINC- Move cinRowPtr to next row
_v_add_u32 v3, v3, s[sgprStrideD1J]                // Move coutRowPtr to next row
v_cmp_lt_u32 s[54:55], v0, s[sgprSizeI]            // coord0 < size0
v_cmp_lt_u32 s[58:59], v1, s[sgprSizeJ]            // coord1 < size1
s_and_b64 s[58:59], s[54:55], s[58:59]             // in0 && in1
_v_add_lshl_u32 v21, v2, v0, 0x1                   // scaleToBpe: accumulate d0 lower and *= bpe into Cin addr
v_cndmask_b32 v21, -1, v21, s[58:59]               // LDC clip if OOB. offset
_v_add_lshl_u32 v20, v3, v0, 0x1                   // scaleToBpe: accumulate d0 lower and *= bpe into Cin addr
v_cndmask_b32 v20, -1, v20, s[58:59]               // LDD clip if OOB. offset
/* (d1,vc1,d0,vc0)=(6,1,1,0) */
s_mov_b32 s54, 128                                 // coordOffset0 d0=1 vc0=0
_v_add_co_u32 v4, vcc, v0, s54                     // coord0.2: coord0 += d0*sg0*VW + vc0
v_cmp_lt_u32 s[54:55], v4, s[sgprSizeI]            // coord0 < size0
v_cmp_lt_u32 s[58:59], v1, s[sgprSizeJ]            // coord1 < size1
s_and_b64 s[58:59], s[54:55], s[58:59]             // in0 && in1
_v_add_lshl_u32 v26, v2, v4, 0x1                   // scaleToBpe: accumulate d0 lower and *= bpe into Cin addr
v_cndmask_b32 v26, -1, v26, s[58:59]               // LDC clip if OOB. offset
_v_add_lshl_u32 v23, v3, v4, 0x1                   // scaleToBpe: accumulate d0 lower and *= bpe into Cin addr
v_cndmask_b32 v23, -1, v23, s[58:59]               // LDD clip if OOB. offset
/* (d1,vc1,d0,vc0)=(6,2,0,0) */
_v_add_co_u32 v1, vcc, v1, 1                       // coord1.1: coord1Vgpr += d1*sg1*VW + vc1

/* Fix for UseInitialStridesCD, emitAddressSetupCode */
_v_add_u32 v2, v2, s[sgprStrideC1J]                // ROWINC- Move cinRowPtr to next row
_v_add_u32 v3, v3, s[sgprStrideD1J]                // Move coutRowPtr to next row
	;; [unrolled: 23-line block ×3, first 2 shown]
v_cmp_lt_u32 s[54:55], v0, s[sgprSizeI]            // coord0 < size0
v_cmp_lt_u32 s[58:59], v1, s[sgprSizeJ]            // coord1 < size1
s_and_b64 s[58:59], s[54:55], s[58:59]             // in0 && in1
_v_add_lshl_u32 v41, v2, v0, 0x1                   // scaleToBpe: accumulate d0 lower and *= bpe into Cin addr
v_cndmask_b32 v41, -1, v41, s[58:59]               // LDC clip if OOB. offset
_v_add_lshl_u32 v40, v3, v0, 0x1                   // scaleToBpe: accumulate d0 lower and *= bpe into Cin addr
v_cndmask_b32 v40, -1, v40, s[58:59]               // LDD clip if OOB. offset
/* (d1,vc1,d0,vc0)=(6,3,1,0) */
s_mov_b32 s54, 128                                 // coordOffset0 d0=1 vc0=0
_v_add_co_u32 v4, vcc, v0, s54                     // coord0.2: coord0 += d0*sg0*VW + vc0
v_cmp_lt_u32 s[54:55], v4, s[sgprSizeI]            // coord0 < size0
v_cmp_lt_u32 s[58:59], v1, s[sgprSizeJ]            // coord1 < size1
s_and_b64 s[58:59], s[54:55], s[58:59]             // in0 && in1
_v_add_lshl_u32 v46, v2, v4, 0x1                   // scaleToBpe: accumulate d0 lower and *= bpe into Cin addr
v_cndmask_b32 v46, -1, v46, s[58:59]               // LDC clip if OOB. offset
_v_add_lshl_u32 v43, v3, v4, 0x1                   // scaleToBpe: accumulate d0 lower and *= bpe into Cin addr
v_cndmask_b32 v43, -1, v43, s[58:59]               // LDD clip if OOB. offset
/* (d1,vc1,d0,vc0)=(7,0,0,0) */
_v_add_co_u32 v1, vcc, v1, 5                       // coord1.1: coord1Vgpr += d1*sg1*VW + vc1

/* Fix for UseInitialStridesCD, emitAddressSetupCode */
s_mul_i32 s54, s[sgprStrideC1J], 5                 // scale stride
_v_add_u32 v2, v2, s54                             // ROWINC- Move cinRowPtr to next row
s_mul_i32 s54, s[sgprStrideD1J], 5                 // scale stride
_v_add_u32 v3, v3, s54                             // Move coutRowPtr to next row
v_cmp_lt_u32 s[54:55], v0, s[sgprSizeI]            // coord0 < size0
v_cmp_lt_u32 s[58:59], v1, s[sgprSizeJ]            // coord1 < size1
s_and_b64 s[58:59], s[54:55], s[58:59]             // in0 && in1
_v_add_lshl_u32 v51, v2, v0, 0x1                   // scaleToBpe: accumulate d0 lower and *= bpe into Cin addr
v_cndmask_b32 v51, -1, v51, s[58:59]               // LDC clip if OOB. offset
_v_add_lshl_u32 v50, v3, v0, 0x1                   // scaleToBpe: accumulate d0 lower and *= bpe into Cin addr
v_cndmask_b32 v50, -1, v50, s[58:59]               // LDD clip if OOB. offset
/* (d1,vc1,d0,vc0)=(7,0,1,0) */
s_mov_b32 s54, 128                                 // coordOffset0 d0=1 vc0=0
_v_add_co_u32 v4, vcc, v0, s54                     // coord0.2: coord0 += d0*sg0*VW + vc0
v_cmp_lt_u32 s[54:55], v4, s[sgprSizeI]            // coord0 < size0
v_cmp_lt_u32 s[58:59], v1, s[sgprSizeJ]            // coord1 < size1
s_and_b64 s[58:59], s[54:55], s[58:59]             // in0 && in1
_v_add_lshl_u32 v56, v2, v4, 0x1                   // scaleToBpe: accumulate d0 lower and *= bpe into Cin addr
v_cndmask_b32 v56, -1, v56, s[58:59]               // LDC clip if OOB. offset
_v_add_lshl_u32 v53, v3, v4, 0x1                   // scaleToBpe: accumulate d0 lower and *= bpe into Cin addr
v_cndmask_b32 v53, -1, v53, s[58:59]               // LDD clip if OOB. offset
/* (d1,vc1,d0,vc0)=(7,1,0,0) */
_v_add_co_u32 v1, vcc, v1, 1                       // coord1.1: coord1Vgpr += d1*sg1*VW + vc1

/* Fix for UseInitialStridesCD, emitAddressSetupCode */
_v_add_u32 v2, v2, s[sgprStrideC1J]                // ROWINC- Move cinRowPtr to next row
_v_add_u32 v3, v3, s[sgprStrideD1J]                // Move coutRowPtr to next row
v_cmp_lt_u32 s[54:55], v0, s[sgprSizeI]            // coord0 < size0
v_cmp_lt_u32 s[58:59], v1, s[sgprSizeJ]            // coord1 < size1
s_and_b64 s[58:59], s[54:55], s[58:59]             // in0 && in1
_v_add_lshl_u32 v61, v2, v0, 0x1                   // scaleToBpe: accumulate d0 lower and *= bpe into Cin addr
v_cndmask_b32 v61, -1, v61, s[58:59]               // LDC clip if OOB. offset
_v_add_lshl_u32 v60, v3, v0, 0x1                   // scaleToBpe: accumulate d0 lower and *= bpe into Cin addr
v_cndmask_b32 v60, -1, v60, s[58:59]               // LDD clip if OOB. offset
/* (d1,vc1,d0,vc0)=(7,1,1,0) */
s_mov_b32 s54, 128                                 // coordOffset0 d0=1 vc0=0
_v_add_co_u32 v4, vcc, v0, s54                     // coord0.2: coord0 += d0*sg0*VW + vc0
v_cmp_lt_u32 s[54:55], v4, s[sgprSizeI]            // coord0 < size0
v_cmp_lt_u32 s[58:59], v1, s[sgprSizeJ]            // coord1 < size1
s_and_b64 s[58:59], s[54:55], s[58:59]             // in0 && in1
_v_add_lshl_u32 v66, v2, v4, 0x1                   // scaleToBpe: accumulate d0 lower and *= bpe into Cin addr
v_cndmask_b32 v66, -1, v66, s[58:59]               // LDC clip if OOB. offset
_v_add_lshl_u32 v63, v3, v4, 0x1                   // scaleToBpe: accumulate d0 lower and *= bpe into Cin addr
v_cndmask_b32 v63, -1, v63, s[58:59]               // LDD clip if OOB. offset
/* (d1,vc1,d0,vc0)=(7,2,0,0) */
_v_add_co_u32 v1, vcc, v1, 1                       // coord1.1: coord1Vgpr += d1*sg1*VW + vc1

/* Fix for UseInitialStridesCD, emitAddressSetupCode */
_v_add_u32 v2, v2, s[sgprStrideC1J]                // ROWINC- Move cinRowPtr to next row
_v_add_u32 v3, v3, s[sgprStrideD1J]                // Move coutRowPtr to next row
	;; [unrolled: 23-line block ×3, first 2 shown]
v_cmp_lt_u32 s[54:55], v0, s[sgprSizeI]            // coord0 < size0
v_cmp_lt_u32 s[58:59], v1, s[sgprSizeJ]            // coord1 < size1
s_and_b64 s[58:59], s[54:55], s[58:59]             // in0 && in1
_v_add_lshl_u32 v81, v2, v0, 0x1                   // scaleToBpe: accumulate d0 lower and *= bpe into Cin addr
v_cndmask_b32 v81, -1, v81, s[58:59]               // LDC clip if OOB. offset
_v_add_lshl_u32 v80, v3, v0, 0x1                   // scaleToBpe: accumulate d0 lower and *= bpe into Cin addr
v_cndmask_b32 v80, -1, v80, s[58:59]               // LDD clip if OOB. offset
/* (d1,vc1,d0,vc0)=(7,3,1,0) */
s_mov_b32 s54, 128                                 // coordOffset0 d0=1 vc0=0
_v_add_co_u32 v4, vcc, v0, s54                     // coord0.2: coord0 += d0*sg0*VW + vc0
v_cmp_lt_u32 s[54:55], v4, s[sgprSizeI]            // coord0 < size0
v_cmp_lt_u32 s[58:59], v1, s[sgprSizeJ]            // coord1 < size1
s_and_b64 s[58:59], s[54:55], s[58:59]             // in0 && in1
_v_add_lshl_u32 v86, v2, v4, 0x1                   // scaleToBpe: accumulate d0 lower and *= bpe into Cin addr
v_cndmask_b32 v86, -1, v86, s[58:59]               // LDC clip if OOB. offset
_v_add_lshl_u32 v83, v3, v4, 0x1                   // scaleToBpe: accumulate d0 lower and *= bpe into Cin addr
v_cndmask_b32 v83, -1, v83, s[58:59]               // LDD clip if OOB. offset
_buffer_load_b32 v12, v11, s[sgprSrdC:sgprSrdC+3], 0, offen offset:0 // load C for beta calc
_buffer_load_b32 v17, v16, s[sgprSrdC:sgprSrdC+3], 0, offen offset:0 // load C for beta calc
_buffer_load_b32 v22, v21, s[sgprSrdC:sgprSrdC+3], 0, offen offset:0 // load C for beta calc
_buffer_load_b32 v27, v26, s[sgprSrdC:sgprSrdC+3], 0, offen offset:0 // load C for beta calc
_buffer_load_b32 v32, v31, s[sgprSrdC:sgprSrdC+3], 0, offen offset:0 // load C for beta calc
_buffer_load_b32 v37, v36, s[sgprSrdC:sgprSrdC+3], 0, offen offset:0 // load C for beta calc
_buffer_load_b32 v42, v41, s[sgprSrdC:sgprSrdC+3], 0, offen offset:0 // load C for beta calc
_buffer_load_b32 v47, v46, s[sgprSrdC:sgprSrdC+3], 0, offen offset:0 // load C for beta calc
_buffer_load_b32 v52, v51, s[sgprSrdC:sgprSrdC+3], 0, offen offset:0 // load C for beta calc
_buffer_load_b32 v57, v56, s[sgprSrdC:sgprSrdC+3], 0, offen offset:0 // load C for beta calc
_buffer_load_b32 v62, v61, s[sgprSrdC:sgprSrdC+3], 0, offen offset:0 // load C for beta calc
_buffer_load_b32 v67, v66, s[sgprSrdC:sgprSrdC+3], 0, offen offset:0 // load C for beta calc
_buffer_load_b32 v72, v71, s[sgprSrdC:sgprSrdC+3], 0, offen offset:0 // load C for beta calc
_buffer_load_b32 v77, v76, s[sgprSrdC:sgprSrdC+3], 0, offen offset:0 // load C for beta calc
_buffer_load_b32 v82, v81, s[sgprSrdC:sgprSrdC+3], 0, offen offset:0 // load C for beta calc
_buffer_load_b32 v87, v86, s[sgprSrdC:sgprSrdC+3], 0, offen offset:0 // load C for beta calc
s_sleep 3 // optimization: sync and wait
s_barrier
v_accvgpr_read_b32 v[vgprValuC+14], acc72 // copy acc to vreg[96]
v_accvgpr_read_b32 v[vgprValuC+15], acc88 // copy acc to vreg[97]
v_accvgpr_read_b32 v[vgprValuC+18], acc104 // copy acc to vreg[98]
v_accvgpr_read_b32 v[vgprValuC+19], acc120 // copy acc to vreg[99]
v_accvgpr_read_b32 v[vgprValuC+24], acc73 // copy acc to vreg[100]
v_accvgpr_read_b32 v[vgprValuC+25], acc89 // copy acc to vreg[101]
v_accvgpr_read_b32 v[vgprValuC+28], acc105 // copy acc to vreg[102]
v_accvgpr_read_b32 v[vgprValuC+29], acc121 // copy acc to vreg[103]
v_accvgpr_read_b32 v[vgprValuC+34], acc74 // copy acc to vreg[104]
v_accvgpr_read_b32 v[vgprValuC+35], acc90 // copy acc to vreg[105]
v_accvgpr_read_b32 v[vgprValuC+38], acc106 // copy acc to vreg[106]
v_accvgpr_read_b32 v[vgprValuC+39], acc122 // copy acc to vreg[107]
v_accvgpr_read_b32 v[vgprValuC+44], acc75 // copy acc to vreg[108]
v_accvgpr_read_b32 v[vgprValuC+45], acc91 // copy acc to vreg[109]
v_accvgpr_read_b32 v[vgprValuC+48], acc107 // copy acc to vreg[110]
v_accvgpr_read_b32 v[vgprValuC+49], acc123 // copy acc to vreg[111]
v_accvgpr_read_b32 v[vgprValuC+54], acc76 // copy acc to vreg[112]
v_accvgpr_read_b32 v[vgprValuC+55], acc92 // copy acc to vreg[113]
v_accvgpr_read_b32 v[vgprValuC+58], acc108 // copy acc to vreg[114]
v_accvgpr_read_b32 v[vgprValuC+59], acc124 // copy acc to vreg[115]
v_accvgpr_read_b32 v[vgprValuC+64], acc77 // copy acc to vreg[116]
v_accvgpr_read_b32 v[vgprValuC+65], acc93 // copy acc to vreg[117]
v_accvgpr_read_b32 v[vgprValuC+68], acc109 // copy acc to vreg[118]
v_accvgpr_read_b32 v[vgprValuC+69], acc125 // copy acc to vreg[119]
v_accvgpr_read_b32 v[vgprValuC+74], acc78 // copy acc to vreg[120]
v_accvgpr_read_b32 v[vgprValuC+75], acc94 // copy acc to vreg[121]
v_accvgpr_read_b32 v[vgprValuC+78], acc110 // copy acc to vreg[122]
v_accvgpr_read_b32 v[vgprValuC+79], acc126 // copy acc to vreg[123]
v_accvgpr_read_b32 v[vgprValuC+84], acc79 // copy acc to vreg[124]
v_accvgpr_read_b32 v[vgprValuC+85], acc95 // copy acc to vreg[125]
v_accvgpr_read_b32 v[vgprValuC+88], acc111 // copy acc to vreg[126]
v_accvgpr_read_b32 v[vgprValuC+89], acc127 // copy acc to vreg[127]
s_nop 1                                            // 2 wait states required before reading vgpr

/* rC *= alpha batchElements=[(6, 0, 0, 0), (6, 1, 0, 0), (6, 0, 1, 0), (6, 1, 1, 0), (6, 0, 2, 0), (6, 1, 2, 0), (6, 0, 3, 0), (6, 1, 3, 0), (7, 0, 0, 0), (7, 1, 0, 0), (7, 0, 1, 0), (7, 1, 1, 0), (7, 0, 2, 0), (7, 1, 2, 0), (7, 0, 3, 0), (7, 1, 3, 0)] */
v_mul_f32 v[vgprValuC+14], s[sgprAlpha], v[vgprValuC+14] // *= alpha
v_mul_f32 v[vgprValuC+15], s[sgprAlpha], v[vgprValuC+15] // *= alpha
	;; [unrolled: 1-line block ×32, first 2 shown]
s_waitcnt vmcnt(0)                                 // wait C

/* apply mask, calc new C and issue writes */
v_mov_b32 v7, 0xffff0000                           // mask for pack two bfloat16 element to 32bit
v_mov_b32 v8, 0x7fff0000                           // fp32 Nan
v_mov_b32 v9, 0x7fff                               // rounding bias for bfloat16
v_lshlrev_b32 v4, 16, v12                          // convert bf16 to fp32
_v_mac_f32 v[vgprValuC+14], v4, s[sgprBeta]        // finalSum = sum*alpha + C*beta
v_and_b32 v4, v12, v7                              // convert bf16 to fp32
_v_mac_f32 v[vgprValuC+15], v4, s[sgprBeta]        // finalSum = sum*alpha + C*beta
v_cmp_u_f32 s[54:55], v[vgprValuC+14], v[vgprValuC+14] // check Nan
v_bfe_u32 v6, v[vgprValuC+14], 16, 1               // Non-Nan case: store lsb of bf16
v_add3_u32 v6, v[vgprValuC+14], v6, v9             // Non-Nan case: add lsb and the increment for rounding
v_cndmask_b32 v[vgprValuC+14], v6, v8, s[54:55]    // 
v_lshrrev_b32 v[vgprValuC+14], 16, v[vgprValuC+14] // convert C to bf16
v_cmp_u_f32 s[54:55], v[vgprValuC+15], v[vgprValuC+15] // check Nan
v_bfe_u32 v6, v[vgprValuC+15], 16, 1               // Non-Nan case: store lsb of bf16
v_add3_u32 v6, v[vgprValuC+15], v6, v9             // Non-Nan case: add lsb and the increment for rounding
v_cndmask_b32 v[vgprValuC+15], v6, v8, s[54:55]    // 
v_and_or_b32 v14, v[vgprValuC+15], v7, v[vgprValuC+14] // pack two bf16 to dword
v_lshlrev_b32 v4, 16, v17                          // convert bf16 to fp32
_v_mac_f32 v[vgprValuC+18], v4, s[sgprBeta]        // finalSum = sum*alpha + C*beta
v_and_b32 v4, v17, v7                              // convert bf16 to fp32
_v_mac_f32 v[vgprValuC+19], v4, s[sgprBeta]        // finalSum = sum*alpha + C*beta
v_cmp_u_f32 s[54:55], v[vgprValuC+18], v[vgprValuC+18] // check Nan
v_bfe_u32 v6, v[vgprValuC+18], 16, 1               // Non-Nan case: store lsb of bf16
v_add3_u32 v6, v[vgprValuC+18], v6, v9             // Non-Nan case: add lsb and the increment for rounding
v_cndmask_b32 v[vgprValuC+18], v6, v8, s[54:55]    // 
v_lshrrev_b32 v[vgprValuC+18], 16, v[vgprValuC+18] // convert C to bf16
v_cmp_u_f32 s[54:55], v[vgprValuC+19], v[vgprValuC+19] // check Nan
v_bfe_u32 v6, v[vgprValuC+19], 16, 1               // Non-Nan case: store lsb of bf16
v_add3_u32 v6, v[vgprValuC+19], v6, v9             // Non-Nan case: add lsb and the increment for rounding
v_cndmask_b32 v[vgprValuC+19], v6, v8, s[54:55]    // 
v_and_or_b32 v18, v[vgprValuC+19], v7, v[vgprValuC+18] // pack two bf16 to dword
	;; [unrolled: 14-line block ×16, first 2 shown]
_buffer_store_b32 v14, v10, s[sgprSrdD:sgprSrdD+3], 0, offen, offset:0 // store D
_buffer_store_b32 v18, v13, s[sgprSrdD:sgprSrdD+3], 0, offen, offset:0 // store D
	;; [unrolled: 1-line block ×16, first 2 shown]
s_nop 0                                            // 1 wait state required when next inst writes vgprs held by previous dwordx4 store inst
/* optSingleColVgpr=0 optSharedColVgpr=0 optSGPRUsage=BufferLoad_Edge_Mask optSrdIncForRow=0 */
s_sleep 3 // optimization: sync and wait
s_barrier

/******************************************/
/* Global Write Alpha Beta Edge Batch #4 (d1,d0,vc1,vc0) = */
/*    (8,0,0,0:vw2); (8,1,0,0:vw2); (8,0,1,0:vw2); (8,1,1,0:vw2); (8,0,2,0:vw2); (8,1,2,0:vw2); (8,0,3,0:vw2); (8,1,3,0:vw2); (9,0,0,0:vw2); (9,1,0,0:vw2); (9,0,1,0:vw2); (9,1,1,0:vw2); (9,0,2,0:vw2); (9,1,2,0:vw2); (9,0,3,0:vw2); (9,1,3,0:vw2) */
/******************************************/

/* calc coords, apply mask, and issue loads (if necessary) */
/* (d1,vc1,d0,vc0)=(8,0,0,0) */
_v_add_co_u32 v1, vcc, v1, 37                      // coord1.1: coord1Vgpr += d1*sg1*VW + vc1

/* Fix for UseInitialStridesCD, emitAddressSetupCode */
s_mul_i32 s54, s[sgprStrideC1J], 37                // scale stride
_v_add_u32 v2, v2, s54                             // ROWINC- Move cinRowPtr to next row
s_mul_i32 s54, s[sgprStrideD1J], 37                // scale stride
_v_add_u32 v3, v3, s54                             // Move coutRowPtr to next row
v_cmp_lt_u32 s[54:55], v0, s[sgprSizeI]            // coord0 < size0
v_cmp_lt_u32 s[58:59], v1, s[sgprSizeJ]            // coord1 < size1
s_and_b64 s[58:59], s[54:55], s[58:59]             // in0 && in1
_v_add_lshl_u32 v11, v2, v0, 0x1                   // scaleToBpe: accumulate d0 lower and *= bpe into Cin addr
v_cndmask_b32 v11, -1, v11, s[58:59]               // LDC clip if OOB. offset
_v_add_lshl_u32 v10, v3, v0, 0x1                   // scaleToBpe: accumulate d0 lower and *= bpe into Cin addr
v_cndmask_b32 v10, -1, v10, s[58:59]               // LDD clip if OOB. offset
/* (d1,vc1,d0,vc0)=(8,0,1,0) */
s_mov_b32 s54, 128                                 // coordOffset0 d0=1 vc0=0
_v_add_co_u32 v4, vcc, v0, s54                     // coord0.2: coord0 += d0*sg0*VW + vc0
v_cmp_lt_u32 s[54:55], v4, s[sgprSizeI]            // coord0 < size0
v_cmp_lt_u32 s[58:59], v1, s[sgprSizeJ]            // coord1 < size1
s_and_b64 s[58:59], s[54:55], s[58:59]             // in0 && in1
_v_add_lshl_u32 v16, v2, v4, 0x1                   // scaleToBpe: accumulate d0 lower and *= bpe into Cin addr
v_cndmask_b32 v16, -1, v16, s[58:59]               // LDC clip if OOB. offset
_v_add_lshl_u32 v13, v3, v4, 0x1                   // scaleToBpe: accumulate d0 lower and *= bpe into Cin addr
v_cndmask_b32 v13, -1, v13, s[58:59]               // LDD clip if OOB. offset
/* (d1,vc1,d0,vc0)=(8,1,0,0) */
_v_add_co_u32 v1, vcc, v1, 1                       // coord1.1: coord1Vgpr += d1*sg1*VW + vc1

/* Fix for UseInitialStridesCD, emitAddressSetupCode */
_v_add_u32 v2, v2, s[sgprStrideC1J]                // ROWINC- Move cinRowPtr to next row
_v_add_u32 v3, v3, s[sgprStrideD1J]                // Move coutRowPtr to next row
v_cmp_lt_u32 s[54:55], v0, s[sgprSizeI]            // coord0 < size0
v_cmp_lt_u32 s[58:59], v1, s[sgprSizeJ]            // coord1 < size1
s_and_b64 s[58:59], s[54:55], s[58:59]             // in0 && in1
_v_add_lshl_u32 v21, v2, v0, 0x1                   // scaleToBpe: accumulate d0 lower and *= bpe into Cin addr
v_cndmask_b32 v21, -1, v21, s[58:59]               // LDC clip if OOB. offset
_v_add_lshl_u32 v20, v3, v0, 0x1                   // scaleToBpe: accumulate d0 lower and *= bpe into Cin addr
v_cndmask_b32 v20, -1, v20, s[58:59]               // LDD clip if OOB. offset
/* (d1,vc1,d0,vc0)=(8,1,1,0) */
s_mov_b32 s54, 128                                 // coordOffset0 d0=1 vc0=0
_v_add_co_u32 v4, vcc, v0, s54                     // coord0.2: coord0 += d0*sg0*VW + vc0
v_cmp_lt_u32 s[54:55], v4, s[sgprSizeI]            // coord0 < size0
v_cmp_lt_u32 s[58:59], v1, s[sgprSizeJ]            // coord1 < size1
s_and_b64 s[58:59], s[54:55], s[58:59]             // in0 && in1
_v_add_lshl_u32 v26, v2, v4, 0x1                   // scaleToBpe: accumulate d0 lower and *= bpe into Cin addr
v_cndmask_b32 v26, -1, v26, s[58:59]               // LDC clip if OOB. offset
_v_add_lshl_u32 v23, v3, v4, 0x1                   // scaleToBpe: accumulate d0 lower and *= bpe into Cin addr
v_cndmask_b32 v23, -1, v23, s[58:59]               // LDD clip if OOB. offset
/* (d1,vc1,d0,vc0)=(8,2,0,0) */
_v_add_co_u32 v1, vcc, v1, 1                       // coord1.1: coord1Vgpr += d1*sg1*VW + vc1

/* Fix for UseInitialStridesCD, emitAddressSetupCode */
_v_add_u32 v2, v2, s[sgprStrideC1J]                // ROWINC- Move cinRowPtr to next row
_v_add_u32 v3, v3, s[sgprStrideD1J]                // Move coutRowPtr to next row
	;; [unrolled: 23-line block ×3, first 2 shown]
v_cmp_lt_u32 s[54:55], v0, s[sgprSizeI]            // coord0 < size0
v_cmp_lt_u32 s[58:59], v1, s[sgprSizeJ]            // coord1 < size1
s_and_b64 s[58:59], s[54:55], s[58:59]             // in0 && in1
_v_add_lshl_u32 v41, v2, v0, 0x1                   // scaleToBpe: accumulate d0 lower and *= bpe into Cin addr
v_cndmask_b32 v41, -1, v41, s[58:59]               // LDC clip if OOB. offset
_v_add_lshl_u32 v40, v3, v0, 0x1                   // scaleToBpe: accumulate d0 lower and *= bpe into Cin addr
v_cndmask_b32 v40, -1, v40, s[58:59]               // LDD clip if OOB. offset
/* (d1,vc1,d0,vc0)=(8,3,1,0) */
s_mov_b32 s54, 128                                 // coordOffset0 d0=1 vc0=0
_v_add_co_u32 v4, vcc, v0, s54                     // coord0.2: coord0 += d0*sg0*VW + vc0
v_cmp_lt_u32 s[54:55], v4, s[sgprSizeI]            // coord0 < size0
v_cmp_lt_u32 s[58:59], v1, s[sgprSizeJ]            // coord1 < size1
s_and_b64 s[58:59], s[54:55], s[58:59]             // in0 && in1
_v_add_lshl_u32 v46, v2, v4, 0x1                   // scaleToBpe: accumulate d0 lower and *= bpe into Cin addr
v_cndmask_b32 v46, -1, v46, s[58:59]               // LDC clip if OOB. offset
_v_add_lshl_u32 v43, v3, v4, 0x1                   // scaleToBpe: accumulate d0 lower and *= bpe into Cin addr
v_cndmask_b32 v43, -1, v43, s[58:59]               // LDD clip if OOB. offset
/* (d1,vc1,d0,vc0)=(9,0,0,0) */
_v_add_co_u32 v1, vcc, v1, 5                       // coord1.1: coord1Vgpr += d1*sg1*VW + vc1

/* Fix for UseInitialStridesCD, emitAddressSetupCode */
s_mul_i32 s54, s[sgprStrideC1J], 5                 // scale stride
_v_add_u32 v2, v2, s54                             // ROWINC- Move cinRowPtr to next row
s_mul_i32 s54, s[sgprStrideD1J], 5                 // scale stride
_v_add_u32 v3, v3, s54                             // Move coutRowPtr to next row
v_cmp_lt_u32 s[54:55], v0, s[sgprSizeI]            // coord0 < size0
v_cmp_lt_u32 s[58:59], v1, s[sgprSizeJ]            // coord1 < size1
s_and_b64 s[58:59], s[54:55], s[58:59]             // in0 && in1
_v_add_lshl_u32 v51, v2, v0, 0x1                   // scaleToBpe: accumulate d0 lower and *= bpe into Cin addr
v_cndmask_b32 v51, -1, v51, s[58:59]               // LDC clip if OOB. offset
_v_add_lshl_u32 v50, v3, v0, 0x1                   // scaleToBpe: accumulate d0 lower and *= bpe into Cin addr
v_cndmask_b32 v50, -1, v50, s[58:59]               // LDD clip if OOB. offset
/* (d1,vc1,d0,vc0)=(9,0,1,0) */
s_mov_b32 s54, 128                                 // coordOffset0 d0=1 vc0=0
_v_add_co_u32 v4, vcc, v0, s54                     // coord0.2: coord0 += d0*sg0*VW + vc0
v_cmp_lt_u32 s[54:55], v4, s[sgprSizeI]            // coord0 < size0
v_cmp_lt_u32 s[58:59], v1, s[sgprSizeJ]            // coord1 < size1
s_and_b64 s[58:59], s[54:55], s[58:59]             // in0 && in1
_v_add_lshl_u32 v56, v2, v4, 0x1                   // scaleToBpe: accumulate d0 lower and *= bpe into Cin addr
v_cndmask_b32 v56, -1, v56, s[58:59]               // LDC clip if OOB. offset
_v_add_lshl_u32 v53, v3, v4, 0x1                   // scaleToBpe: accumulate d0 lower and *= bpe into Cin addr
v_cndmask_b32 v53, -1, v53, s[58:59]               // LDD clip if OOB. offset
/* (d1,vc1,d0,vc0)=(9,1,0,0) */
_v_add_co_u32 v1, vcc, v1, 1                       // coord1.1: coord1Vgpr += d1*sg1*VW + vc1

/* Fix for UseInitialStridesCD, emitAddressSetupCode */
_v_add_u32 v2, v2, s[sgprStrideC1J]                // ROWINC- Move cinRowPtr to next row
_v_add_u32 v3, v3, s[sgprStrideD1J]                // Move coutRowPtr to next row
v_cmp_lt_u32 s[54:55], v0, s[sgprSizeI]            // coord0 < size0
v_cmp_lt_u32 s[58:59], v1, s[sgprSizeJ]            // coord1 < size1
s_and_b64 s[58:59], s[54:55], s[58:59]             // in0 && in1
_v_add_lshl_u32 v61, v2, v0, 0x1                   // scaleToBpe: accumulate d0 lower and *= bpe into Cin addr
v_cndmask_b32 v61, -1, v61, s[58:59]               // LDC clip if OOB. offset
_v_add_lshl_u32 v60, v3, v0, 0x1                   // scaleToBpe: accumulate d0 lower and *= bpe into Cin addr
v_cndmask_b32 v60, -1, v60, s[58:59]               // LDD clip if OOB. offset
/* (d1,vc1,d0,vc0)=(9,1,1,0) */
s_mov_b32 s54, 128                                 // coordOffset0 d0=1 vc0=0
_v_add_co_u32 v4, vcc, v0, s54                     // coord0.2: coord0 += d0*sg0*VW + vc0
v_cmp_lt_u32 s[54:55], v4, s[sgprSizeI]            // coord0 < size0
v_cmp_lt_u32 s[58:59], v1, s[sgprSizeJ]            // coord1 < size1
s_and_b64 s[58:59], s[54:55], s[58:59]             // in0 && in1
_v_add_lshl_u32 v66, v2, v4, 0x1                   // scaleToBpe: accumulate d0 lower and *= bpe into Cin addr
v_cndmask_b32 v66, -1, v66, s[58:59]               // LDC clip if OOB. offset
_v_add_lshl_u32 v63, v3, v4, 0x1                   // scaleToBpe: accumulate d0 lower and *= bpe into Cin addr
v_cndmask_b32 v63, -1, v63, s[58:59]               // LDD clip if OOB. offset
/* (d1,vc1,d0,vc0)=(9,2,0,0) */
_v_add_co_u32 v1, vcc, v1, 1                       // coord1.1: coord1Vgpr += d1*sg1*VW + vc1

/* Fix for UseInitialStridesCD, emitAddressSetupCode */
_v_add_u32 v2, v2, s[sgprStrideC1J]                // ROWINC- Move cinRowPtr to next row
_v_add_u32 v3, v3, s[sgprStrideD1J]                // Move coutRowPtr to next row
	;; [unrolled: 23-line block ×3, first 2 shown]
v_cmp_lt_u32 s[54:55], v0, s[sgprSizeI]            // coord0 < size0
v_cmp_lt_u32 s[58:59], v1, s[sgprSizeJ]            // coord1 < size1
s_and_b64 s[58:59], s[54:55], s[58:59]             // in0 && in1
_v_add_lshl_u32 v81, v2, v0, 0x1                   // scaleToBpe: accumulate d0 lower and *= bpe into Cin addr
v_cndmask_b32 v81, -1, v81, s[58:59]               // LDC clip if OOB. offset
_v_add_lshl_u32 v80, v3, v0, 0x1                   // scaleToBpe: accumulate d0 lower and *= bpe into Cin addr
v_cndmask_b32 v80, -1, v80, s[58:59]               // LDD clip if OOB. offset
/* (d1,vc1,d0,vc0)=(9,3,1,0) */
s_mov_b32 s54, 128                                 // coordOffset0 d0=1 vc0=0
_v_add_co_u32 v4, vcc, v0, s54                     // coord0.2: coord0 += d0*sg0*VW + vc0
v_cmp_lt_u32 s[54:55], v4, s[sgprSizeI]            // coord0 < size0
v_cmp_lt_u32 s[58:59], v1, s[sgprSizeJ]            // coord1 < size1
s_and_b64 s[58:59], s[54:55], s[58:59]             // in0 && in1
_v_add_lshl_u32 v86, v2, v4, 0x1                   // scaleToBpe: accumulate d0 lower and *= bpe into Cin addr
v_cndmask_b32 v86, -1, v86, s[58:59]               // LDC clip if OOB. offset
_v_add_lshl_u32 v83, v3, v4, 0x1                   // scaleToBpe: accumulate d0 lower and *= bpe into Cin addr
v_cndmask_b32 v83, -1, v83, s[58:59]               // LDD clip if OOB. offset
_buffer_load_b32 v12, v11, s[sgprSrdC:sgprSrdC+3], 0, offen offset:0 // load C for beta calc
_buffer_load_b32 v17, v16, s[sgprSrdC:sgprSrdC+3], 0, offen offset:0 // load C for beta calc
	;; [unrolled: 1-line block ×16, first 2 shown]
s_sleep 3 // optimization: sync and wait
s_barrier
v_accvgpr_read_b32 v[vgprValuC+14], acc128 // copy acc to vreg[128]
v_accvgpr_read_b32 v[vgprValuC+15], acc144 // copy acc to vreg[129]
v_accvgpr_read_b32 v[vgprValuC+18], acc160 // copy acc to vreg[130]
v_accvgpr_read_b32 v[vgprValuC+19], acc176 // copy acc to vreg[131]
v_accvgpr_read_b32 v[vgprValuC+24], acc129 // copy acc to vreg[132]
v_accvgpr_read_b32 v[vgprValuC+25], acc145 // copy acc to vreg[133]
v_accvgpr_read_b32 v[vgprValuC+28], acc161 // copy acc to vreg[134]
v_accvgpr_read_b32 v[vgprValuC+29], acc177 // copy acc to vreg[135]
v_accvgpr_read_b32 v[vgprValuC+34], acc130 // copy acc to vreg[136]
v_accvgpr_read_b32 v[vgprValuC+35], acc146 // copy acc to vreg[137]
v_accvgpr_read_b32 v[vgprValuC+38], acc162 // copy acc to vreg[138]
v_accvgpr_read_b32 v[vgprValuC+39], acc178 // copy acc to vreg[139]
v_accvgpr_read_b32 v[vgprValuC+44], acc131 // copy acc to vreg[140]
v_accvgpr_read_b32 v[vgprValuC+45], acc147 // copy acc to vreg[141]
v_accvgpr_read_b32 v[vgprValuC+48], acc163 // copy acc to vreg[142]
v_accvgpr_read_b32 v[vgprValuC+49], acc179 // copy acc to vreg[143]
v_accvgpr_read_b32 v[vgprValuC+54], acc132 // copy acc to vreg[144]
v_accvgpr_read_b32 v[vgprValuC+55], acc148 // copy acc to vreg[145]
v_accvgpr_read_b32 v[vgprValuC+58], acc164 // copy acc to vreg[146]
v_accvgpr_read_b32 v[vgprValuC+59], acc180 // copy acc to vreg[147]
v_accvgpr_read_b32 v[vgprValuC+64], acc133 // copy acc to vreg[148]
v_accvgpr_read_b32 v[vgprValuC+65], acc149 // copy acc to vreg[149]
v_accvgpr_read_b32 v[vgprValuC+68], acc165 // copy acc to vreg[150]
v_accvgpr_read_b32 v[vgprValuC+69], acc181 // copy acc to vreg[151]
v_accvgpr_read_b32 v[vgprValuC+74], acc134 // copy acc to vreg[152]
v_accvgpr_read_b32 v[vgprValuC+75], acc150 // copy acc to vreg[153]
v_accvgpr_read_b32 v[vgprValuC+78], acc166 // copy acc to vreg[154]
v_accvgpr_read_b32 v[vgprValuC+79], acc182 // copy acc to vreg[155]
v_accvgpr_read_b32 v[vgprValuC+84], acc135 // copy acc to vreg[156]
v_accvgpr_read_b32 v[vgprValuC+85], acc151 // copy acc to vreg[157]
v_accvgpr_read_b32 v[vgprValuC+88], acc167 // copy acc to vreg[158]
v_accvgpr_read_b32 v[vgprValuC+89], acc183 // copy acc to vreg[159]
s_nop 1                                            // 2 wait states required before reading vgpr

/* rC *= alpha batchElements=[(8, 0, 0, 0), (8, 1, 0, 0), (8, 0, 1, 0), (8, 1, 1, 0), (8, 0, 2, 0), (8, 1, 2, 0), (8, 0, 3, 0), (8, 1, 3, 0), (9, 0, 0, 0), (9, 1, 0, 0), (9, 0, 1, 0), (9, 1, 1, 0), (9, 0, 2, 0), (9, 1, 2, 0), (9, 0, 3, 0), (9, 1, 3, 0)] */
v_mul_f32 v[vgprValuC+14], s[sgprAlpha], v[vgprValuC+14] // *= alpha
v_mul_f32 v[vgprValuC+15], s[sgprAlpha], v[vgprValuC+15] // *= alpha
	;; [unrolled: 1-line block ×32, first 2 shown]
s_waitcnt vmcnt(0)                                 // wait C

/* apply mask, calc new C and issue writes */
v_mov_b32 v7, 0xffff0000                           // mask for pack two bfloat16 element to 32bit
v_mov_b32 v8, 0x7fff0000                           // fp32 Nan
v_mov_b32 v9, 0x7fff                               // rounding bias for bfloat16
v_lshlrev_b32 v4, 16, v12                          // convert bf16 to fp32
_v_mac_f32 v[vgprValuC+14], v4, s[sgprBeta]        // finalSum = sum*alpha + C*beta
v_and_b32 v4, v12, v7                              // convert bf16 to fp32
_v_mac_f32 v[vgprValuC+15], v4, s[sgprBeta]        // finalSum = sum*alpha + C*beta
v_cmp_u_f32 s[54:55], v[vgprValuC+14], v[vgprValuC+14] // check Nan
v_bfe_u32 v6, v[vgprValuC+14], 16, 1               // Non-Nan case: store lsb of bf16
v_add3_u32 v6, v[vgprValuC+14], v6, v9             // Non-Nan case: add lsb and the increment for rounding
v_cndmask_b32 v[vgprValuC+14], v6, v8, s[54:55]    // 
v_lshrrev_b32 v[vgprValuC+14], 16, v[vgprValuC+14] // convert C to bf16
v_cmp_u_f32 s[54:55], v[vgprValuC+15], v[vgprValuC+15] // check Nan
v_bfe_u32 v6, v[vgprValuC+15], 16, 1               // Non-Nan case: store lsb of bf16
v_add3_u32 v6, v[vgprValuC+15], v6, v9             // Non-Nan case: add lsb and the increment for rounding
v_cndmask_b32 v[vgprValuC+15], v6, v8, s[54:55]    // 
v_and_or_b32 v14, v[vgprValuC+15], v7, v[vgprValuC+14] // pack two bf16 to dword
v_lshlrev_b32 v4, 16, v17                          // convert bf16 to fp32
_v_mac_f32 v[vgprValuC+18], v4, s[sgprBeta]        // finalSum = sum*alpha + C*beta
v_and_b32 v4, v17, v7                              // convert bf16 to fp32
_v_mac_f32 v[vgprValuC+19], v4, s[sgprBeta]        // finalSum = sum*alpha + C*beta
v_cmp_u_f32 s[54:55], v[vgprValuC+18], v[vgprValuC+18] // check Nan
v_bfe_u32 v6, v[vgprValuC+18], 16, 1               // Non-Nan case: store lsb of bf16
v_add3_u32 v6, v[vgprValuC+18], v6, v9             // Non-Nan case: add lsb and the increment for rounding
v_cndmask_b32 v[vgprValuC+18], v6, v8, s[54:55]    // 
v_lshrrev_b32 v[vgprValuC+18], 16, v[vgprValuC+18] // convert C to bf16
v_cmp_u_f32 s[54:55], v[vgprValuC+19], v[vgprValuC+19] // check Nan
v_bfe_u32 v6, v[vgprValuC+19], 16, 1               // Non-Nan case: store lsb of bf16
v_add3_u32 v6, v[vgprValuC+19], v6, v9             // Non-Nan case: add lsb and the increment for rounding
v_cndmask_b32 v[vgprValuC+19], v6, v8, s[54:55]    // 
v_and_or_b32 v18, v[vgprValuC+19], v7, v[vgprValuC+18] // pack two bf16 to dword
	;; [unrolled: 14-line block ×16, first 2 shown]
_buffer_store_b32 v14, v10, s[sgprSrdD:sgprSrdD+3], 0, offen, offset:0 // store D
_buffer_store_b32 v18, v13, s[sgprSrdD:sgprSrdD+3], 0, offen, offset:0 // store D
	;; [unrolled: 1-line block ×16, first 2 shown]
s_nop 0                                            // 1 wait state required when next inst writes vgprs held by previous dwordx4 store inst
/* optSingleColVgpr=0 optSharedColVgpr=0 optSGPRUsage=BufferLoad_Edge_Mask optSrdIncForRow=0 */
s_sleep 3 // optimization: sync and wait
s_barrier

/******************************************/
/* Global Write Alpha Beta Edge Batch #5 (d1,d0,vc1,vc0) = */
/*    (10,0,0,0:vw2); (10,1,0,0:vw2); (10,0,1,0:vw2); (10,1,1,0:vw2); (10,0,2,0:vw2); (10,1,2,0:vw2); (10,0,3,0:vw2); (10,1,3,0:vw2); (11,0,0,0:vw2); (11,1,0,0:vw2); (11,0,1,0:vw2); (11,1,1,0:vw2); (11,0,2,0:vw2); (11,1,2,0:vw2); (11,0,3,0:vw2); (11,1,3,0:vw2) */
/******************************************/

/* calc coords, apply mask, and issue loads (if necessary) */
/* (d1,vc1,d0,vc0)=(10,0,0,0) */
_v_add_co_u32 v1, vcc, v1, 5                       // coord1.1: coord1Vgpr += d1*sg1*VW + vc1

/* Fix for UseInitialStridesCD, emitAddressSetupCode */
s_mul_i32 s54, s[sgprStrideC1J], 5                 // scale stride
_v_add_u32 v2, v2, s54                             // ROWINC- Move cinRowPtr to next row
s_mul_i32 s54, s[sgprStrideD1J], 5                 // scale stride
_v_add_u32 v3, v3, s54                             // Move coutRowPtr to next row
v_cmp_lt_u32 s[54:55], v0, s[sgprSizeI]            // coord0 < size0
v_cmp_lt_u32 s[58:59], v1, s[sgprSizeJ]            // coord1 < size1
s_and_b64 s[58:59], s[54:55], s[58:59]             // in0 && in1
_v_add_lshl_u32 v11, v2, v0, 0x1                   // scaleToBpe: accumulate d0 lower and *= bpe into Cin addr
v_cndmask_b32 v11, -1, v11, s[58:59]               // LDC clip if OOB. offset
_v_add_lshl_u32 v10, v3, v0, 0x1                   // scaleToBpe: accumulate d0 lower and *= bpe into Cin addr
v_cndmask_b32 v10, -1, v10, s[58:59]               // LDD clip if OOB. offset
/* (d1,vc1,d0,vc0)=(10,0,1,0) */
s_mov_b32 s54, 128                                 // coordOffset0 d0=1 vc0=0
_v_add_co_u32 v4, vcc, v0, s54                     // coord0.2: coord0 += d0*sg0*VW + vc0
v_cmp_lt_u32 s[54:55], v4, s[sgprSizeI]            // coord0 < size0
v_cmp_lt_u32 s[58:59], v1, s[sgprSizeJ]            // coord1 < size1
s_and_b64 s[58:59], s[54:55], s[58:59]             // in0 && in1
_v_add_lshl_u32 v16, v2, v4, 0x1                   // scaleToBpe: accumulate d0 lower and *= bpe into Cin addr
v_cndmask_b32 v16, -1, v16, s[58:59]               // LDC clip if OOB. offset
_v_add_lshl_u32 v13, v3, v4, 0x1                   // scaleToBpe: accumulate d0 lower and *= bpe into Cin addr
v_cndmask_b32 v13, -1, v13, s[58:59]               // LDD clip if OOB. offset
/* (d1,vc1,d0,vc0)=(10,1,0,0) */
_v_add_co_u32 v1, vcc, v1, 1                       // coord1.1: coord1Vgpr += d1*sg1*VW + vc1

/* Fix for UseInitialStridesCD, emitAddressSetupCode */
_v_add_u32 v2, v2, s[sgprStrideC1J]                // ROWINC- Move cinRowPtr to next row
_v_add_u32 v3, v3, s[sgprStrideD1J]                // Move coutRowPtr to next row
v_cmp_lt_u32 s[54:55], v0, s[sgprSizeI]            // coord0 < size0
v_cmp_lt_u32 s[58:59], v1, s[sgprSizeJ]            // coord1 < size1
s_and_b64 s[58:59], s[54:55], s[58:59]             // in0 && in1
_v_add_lshl_u32 v21, v2, v0, 0x1                   // scaleToBpe: accumulate d0 lower and *= bpe into Cin addr
v_cndmask_b32 v21, -1, v21, s[58:59]               // LDC clip if OOB. offset
_v_add_lshl_u32 v20, v3, v0, 0x1                   // scaleToBpe: accumulate d0 lower and *= bpe into Cin addr
v_cndmask_b32 v20, -1, v20, s[58:59]               // LDD clip if OOB. offset
/* (d1,vc1,d0,vc0)=(10,1,1,0) */
s_mov_b32 s54, 128                                 // coordOffset0 d0=1 vc0=0
_v_add_co_u32 v4, vcc, v0, s54                     // coord0.2: coord0 += d0*sg0*VW + vc0
v_cmp_lt_u32 s[54:55], v4, s[sgprSizeI]            // coord0 < size0
v_cmp_lt_u32 s[58:59], v1, s[sgprSizeJ]            // coord1 < size1
s_and_b64 s[58:59], s[54:55], s[58:59]             // in0 && in1
_v_add_lshl_u32 v26, v2, v4, 0x1                   // scaleToBpe: accumulate d0 lower and *= bpe into Cin addr
v_cndmask_b32 v26, -1, v26, s[58:59]               // LDC clip if OOB. offset
_v_add_lshl_u32 v23, v3, v4, 0x1                   // scaleToBpe: accumulate d0 lower and *= bpe into Cin addr
v_cndmask_b32 v23, -1, v23, s[58:59]               // LDD clip if OOB. offset
/* (d1,vc1,d0,vc0)=(10,2,0,0) */
_v_add_co_u32 v1, vcc, v1, 1                       // coord1.1: coord1Vgpr += d1*sg1*VW + vc1

/* Fix for UseInitialStridesCD, emitAddressSetupCode */
_v_add_u32 v2, v2, s[sgprStrideC1J]                // ROWINC- Move cinRowPtr to next row
_v_add_u32 v3, v3, s[sgprStrideD1J]                // Move coutRowPtr to next row
	;; [unrolled: 23-line block ×3, first 2 shown]
v_cmp_lt_u32 s[54:55], v0, s[sgprSizeI]            // coord0 < size0
v_cmp_lt_u32 s[58:59], v1, s[sgprSizeJ]            // coord1 < size1
s_and_b64 s[58:59], s[54:55], s[58:59]             // in0 && in1
_v_add_lshl_u32 v41, v2, v0, 0x1                   // scaleToBpe: accumulate d0 lower and *= bpe into Cin addr
v_cndmask_b32 v41, -1, v41, s[58:59]               // LDC clip if OOB. offset
_v_add_lshl_u32 v40, v3, v0, 0x1                   // scaleToBpe: accumulate d0 lower and *= bpe into Cin addr
v_cndmask_b32 v40, -1, v40, s[58:59]               // LDD clip if OOB. offset
/* (d1,vc1,d0,vc0)=(10,3,1,0) */
s_mov_b32 s54, 128                                 // coordOffset0 d0=1 vc0=0
_v_add_co_u32 v4, vcc, v0, s54                     // coord0.2: coord0 += d0*sg0*VW + vc0
v_cmp_lt_u32 s[54:55], v4, s[sgprSizeI]            // coord0 < size0
v_cmp_lt_u32 s[58:59], v1, s[sgprSizeJ]            // coord1 < size1
s_and_b64 s[58:59], s[54:55], s[58:59]             // in0 && in1
_v_add_lshl_u32 v46, v2, v4, 0x1                   // scaleToBpe: accumulate d0 lower and *= bpe into Cin addr
v_cndmask_b32 v46, -1, v46, s[58:59]               // LDC clip if OOB. offset
_v_add_lshl_u32 v43, v3, v4, 0x1                   // scaleToBpe: accumulate d0 lower and *= bpe into Cin addr
v_cndmask_b32 v43, -1, v43, s[58:59]               // LDD clip if OOB. offset
/* (d1,vc1,d0,vc0)=(11,0,0,0) */
_v_add_co_u32 v1, vcc, v1, 5                       // coord1.1: coord1Vgpr += d1*sg1*VW + vc1

/* Fix for UseInitialStridesCD, emitAddressSetupCode */
s_mul_i32 s54, s[sgprStrideC1J], 5                 // scale stride
_v_add_u32 v2, v2, s54                             // ROWINC- Move cinRowPtr to next row
s_mul_i32 s54, s[sgprStrideD1J], 5                 // scale stride
_v_add_u32 v3, v3, s54                             // Move coutRowPtr to next row
v_cmp_lt_u32 s[54:55], v0, s[sgprSizeI]            // coord0 < size0
v_cmp_lt_u32 s[58:59], v1, s[sgprSizeJ]            // coord1 < size1
s_and_b64 s[58:59], s[54:55], s[58:59]             // in0 && in1
_v_add_lshl_u32 v51, v2, v0, 0x1                   // scaleToBpe: accumulate d0 lower and *= bpe into Cin addr
v_cndmask_b32 v51, -1, v51, s[58:59]               // LDC clip if OOB. offset
_v_add_lshl_u32 v50, v3, v0, 0x1                   // scaleToBpe: accumulate d0 lower and *= bpe into Cin addr
v_cndmask_b32 v50, -1, v50, s[58:59]               // LDD clip if OOB. offset
/* (d1,vc1,d0,vc0)=(11,0,1,0) */
s_mov_b32 s54, 128                                 // coordOffset0 d0=1 vc0=0
_v_add_co_u32 v4, vcc, v0, s54                     // coord0.2: coord0 += d0*sg0*VW + vc0
v_cmp_lt_u32 s[54:55], v4, s[sgprSizeI]            // coord0 < size0
v_cmp_lt_u32 s[58:59], v1, s[sgprSizeJ]            // coord1 < size1
s_and_b64 s[58:59], s[54:55], s[58:59]             // in0 && in1
_v_add_lshl_u32 v56, v2, v4, 0x1                   // scaleToBpe: accumulate d0 lower and *= bpe into Cin addr
v_cndmask_b32 v56, -1, v56, s[58:59]               // LDC clip if OOB. offset
_v_add_lshl_u32 v53, v3, v4, 0x1                   // scaleToBpe: accumulate d0 lower and *= bpe into Cin addr
v_cndmask_b32 v53, -1, v53, s[58:59]               // LDD clip if OOB. offset
/* (d1,vc1,d0,vc0)=(11,1,0,0) */
_v_add_co_u32 v1, vcc, v1, 1                       // coord1.1: coord1Vgpr += d1*sg1*VW + vc1

/* Fix for UseInitialStridesCD, emitAddressSetupCode */
_v_add_u32 v2, v2, s[sgprStrideC1J]                // ROWINC- Move cinRowPtr to next row
_v_add_u32 v3, v3, s[sgprStrideD1J]                // Move coutRowPtr to next row
v_cmp_lt_u32 s[54:55], v0, s[sgprSizeI]            // coord0 < size0
v_cmp_lt_u32 s[58:59], v1, s[sgprSizeJ]            // coord1 < size1
s_and_b64 s[58:59], s[54:55], s[58:59]             // in0 && in1
_v_add_lshl_u32 v61, v2, v0, 0x1                   // scaleToBpe: accumulate d0 lower and *= bpe into Cin addr
v_cndmask_b32 v61, -1, v61, s[58:59]               // LDC clip if OOB. offset
_v_add_lshl_u32 v60, v3, v0, 0x1                   // scaleToBpe: accumulate d0 lower and *= bpe into Cin addr
v_cndmask_b32 v60, -1, v60, s[58:59]               // LDD clip if OOB. offset
/* (d1,vc1,d0,vc0)=(11,1,1,0) */
s_mov_b32 s54, 128                                 // coordOffset0 d0=1 vc0=0
_v_add_co_u32 v4, vcc, v0, s54                     // coord0.2: coord0 += d0*sg0*VW + vc0
v_cmp_lt_u32 s[54:55], v4, s[sgprSizeI]            // coord0 < size0
v_cmp_lt_u32 s[58:59], v1, s[sgprSizeJ]            // coord1 < size1
s_and_b64 s[58:59], s[54:55], s[58:59]             // in0 && in1
_v_add_lshl_u32 v66, v2, v4, 0x1                   // scaleToBpe: accumulate d0 lower and *= bpe into Cin addr
v_cndmask_b32 v66, -1, v66, s[58:59]               // LDC clip if OOB. offset
_v_add_lshl_u32 v63, v3, v4, 0x1                   // scaleToBpe: accumulate d0 lower and *= bpe into Cin addr
v_cndmask_b32 v63, -1, v63, s[58:59]               // LDD clip if OOB. offset
/* (d1,vc1,d0,vc0)=(11,2,0,0) */
_v_add_co_u32 v1, vcc, v1, 1                       // coord1.1: coord1Vgpr += d1*sg1*VW + vc1

/* Fix for UseInitialStridesCD, emitAddressSetupCode */
_v_add_u32 v2, v2, s[sgprStrideC1J]                // ROWINC- Move cinRowPtr to next row
_v_add_u32 v3, v3, s[sgprStrideD1J]                // Move coutRowPtr to next row
	;; [unrolled: 23-line block ×3, first 2 shown]
v_cmp_lt_u32 s[54:55], v0, s[sgprSizeI]            // coord0 < size0
v_cmp_lt_u32 s[58:59], v1, s[sgprSizeJ]            // coord1 < size1
s_and_b64 s[58:59], s[54:55], s[58:59]             // in0 && in1
_v_add_lshl_u32 v81, v2, v0, 0x1                   // scaleToBpe: accumulate d0 lower and *= bpe into Cin addr
v_cndmask_b32 v81, -1, v81, s[58:59]               // LDC clip if OOB. offset
_v_add_lshl_u32 v80, v3, v0, 0x1                   // scaleToBpe: accumulate d0 lower and *= bpe into Cin addr
v_cndmask_b32 v80, -1, v80, s[58:59]               // LDD clip if OOB. offset
/* (d1,vc1,d0,vc0)=(11,3,1,0) */
s_mov_b32 s54, 128                                 // coordOffset0 d0=1 vc0=0
_v_add_co_u32 v4, vcc, v0, s54                     // coord0.2: coord0 += d0*sg0*VW + vc0
v_cmp_lt_u32 s[54:55], v4, s[sgprSizeI]            // coord0 < size0
v_cmp_lt_u32 s[58:59], v1, s[sgprSizeJ]            // coord1 < size1
s_and_b64 s[58:59], s[54:55], s[58:59]             // in0 && in1
_v_add_lshl_u32 v86, v2, v4, 0x1                   // scaleToBpe: accumulate d0 lower and *= bpe into Cin addr
v_cndmask_b32 v86, -1, v86, s[58:59]               // LDC clip if OOB. offset
_v_add_lshl_u32 v83, v3, v4, 0x1                   // scaleToBpe: accumulate d0 lower and *= bpe into Cin addr
v_cndmask_b32 v83, -1, v83, s[58:59]               // LDD clip if OOB. offset
_buffer_load_b32 v12, v11, s[sgprSrdC:sgprSrdC+3], 0, offen offset:0 // load C for beta calc
_buffer_load_b32 v17, v16, s[sgprSrdC:sgprSrdC+3], 0, offen offset:0 // load C for beta calc
	;; [unrolled: 1-line block ×16, first 2 shown]
s_sleep 3 // optimization: sync and wait
s_barrier
v_accvgpr_read_b32 v[vgprValuC+14], acc136 // copy acc to vreg[160]
v_accvgpr_read_b32 v[vgprValuC+15], acc152 // copy acc to vreg[161]
v_accvgpr_read_b32 v[vgprValuC+18], acc168 // copy acc to vreg[162]
v_accvgpr_read_b32 v[vgprValuC+19], acc184 // copy acc to vreg[163]
v_accvgpr_read_b32 v[vgprValuC+24], acc137 // copy acc to vreg[164]
v_accvgpr_read_b32 v[vgprValuC+25], acc153 // copy acc to vreg[165]
v_accvgpr_read_b32 v[vgprValuC+28], acc169 // copy acc to vreg[166]
v_accvgpr_read_b32 v[vgprValuC+29], acc185 // copy acc to vreg[167]
v_accvgpr_read_b32 v[vgprValuC+34], acc138 // copy acc to vreg[168]
v_accvgpr_read_b32 v[vgprValuC+35], acc154 // copy acc to vreg[169]
v_accvgpr_read_b32 v[vgprValuC+38], acc170 // copy acc to vreg[170]
v_accvgpr_read_b32 v[vgprValuC+39], acc186 // copy acc to vreg[171]
v_accvgpr_read_b32 v[vgprValuC+44], acc139 // copy acc to vreg[172]
v_accvgpr_read_b32 v[vgprValuC+45], acc155 // copy acc to vreg[173]
v_accvgpr_read_b32 v[vgprValuC+48], acc171 // copy acc to vreg[174]
v_accvgpr_read_b32 v[vgprValuC+49], acc187 // copy acc to vreg[175]
v_accvgpr_read_b32 v[vgprValuC+54], acc140 // copy acc to vreg[176]
v_accvgpr_read_b32 v[vgprValuC+55], acc156 // copy acc to vreg[177]
v_accvgpr_read_b32 v[vgprValuC+58], acc172 // copy acc to vreg[178]
v_accvgpr_read_b32 v[vgprValuC+59], acc188 // copy acc to vreg[179]
v_accvgpr_read_b32 v[vgprValuC+64], acc141 // copy acc to vreg[180]
v_accvgpr_read_b32 v[vgprValuC+65], acc157 // copy acc to vreg[181]
v_accvgpr_read_b32 v[vgprValuC+68], acc173 // copy acc to vreg[182]
v_accvgpr_read_b32 v[vgprValuC+69], acc189 // copy acc to vreg[183]
v_accvgpr_read_b32 v[vgprValuC+74], acc142 // copy acc to vreg[184]
v_accvgpr_read_b32 v[vgprValuC+75], acc158 // copy acc to vreg[185]
v_accvgpr_read_b32 v[vgprValuC+78], acc174 // copy acc to vreg[186]
v_accvgpr_read_b32 v[vgprValuC+79], acc190 // copy acc to vreg[187]
v_accvgpr_read_b32 v[vgprValuC+84], acc143 // copy acc to vreg[188]
v_accvgpr_read_b32 v[vgprValuC+85], acc159 // copy acc to vreg[189]
v_accvgpr_read_b32 v[vgprValuC+88], acc175 // copy acc to vreg[190]
v_accvgpr_read_b32 v[vgprValuC+89], acc191 // copy acc to vreg[191]
s_nop 1                                            // 2 wait states required before reading vgpr

/* rC *= alpha batchElements=[(10, 0, 0, 0), (10, 1, 0, 0), (10, 0, 1, 0), (10, 1, 1, 0), (10, 0, 2, 0), (10, 1, 2, 0), (10, 0, 3, 0), (10, 1, 3, 0), (11, 0, 0, 0), (11, 1, 0, 0), (11, 0, 1, 0), (11, 1, 1, 0), (11, 0, 2, 0), (11, 1, 2, 0), (11, 0, 3, 0), (11, 1, 3, 0)] */
v_mul_f32 v[vgprValuC+14], s[sgprAlpha], v[vgprValuC+14] // *= alpha
v_mul_f32 v[vgprValuC+15], s[sgprAlpha], v[vgprValuC+15] // *= alpha
v_mul_f32 v[vgprValuC+18], s[sgprAlpha], v[vgprValuC+18] // *= alpha
v_mul_f32 v[vgprValuC+19], s[sgprAlpha], v[vgprValuC+19] // *= alpha
v_mul_f32 v[vgprValuC+24], s[sgprAlpha], v[vgprValuC+24] // *= alpha
v_mul_f32 v[vgprValuC+25], s[sgprAlpha], v[vgprValuC+25] // *= alpha
v_mul_f32 v[vgprValuC+28], s[sgprAlpha], v[vgprValuC+28] // *= alpha
v_mul_f32 v[vgprValuC+29], s[sgprAlpha], v[vgprValuC+29] // *= alpha
v_mul_f32 v[vgprValuC+34], s[sgprAlpha], v[vgprValuC+34] // *= alpha
v_mul_f32 v[vgprValuC+35], s[sgprAlpha], v[vgprValuC+35] // *= alpha
v_mul_f32 v[vgprValuC+38], s[sgprAlpha], v[vgprValuC+38] // *= alpha
v_mul_f32 v[vgprValuC+39], s[sgprAlpha], v[vgprValuC+39] // *= alpha
v_mul_f32 v[vgprValuC+44], s[sgprAlpha], v[vgprValuC+44] // *= alpha
v_mul_f32 v[vgprValuC+45], s[sgprAlpha], v[vgprValuC+45] // *= alpha
v_mul_f32 v[vgprValuC+48], s[sgprAlpha], v[vgprValuC+48] // *= alpha
v_mul_f32 v[vgprValuC+49], s[sgprAlpha], v[vgprValuC+49] // *= alpha
v_mul_f32 v[vgprValuC+54], s[sgprAlpha], v[vgprValuC+54] // *= alpha
v_mul_f32 v[vgprValuC+55], s[sgprAlpha], v[vgprValuC+55] // *= alpha
v_mul_f32 v[vgprValuC+58], s[sgprAlpha], v[vgprValuC+58] // *= alpha
v_mul_f32 v[vgprValuC+59], s[sgprAlpha], v[vgprValuC+59] // *= alpha
v_mul_f32 v[vgprValuC+64], s[sgprAlpha], v[vgprValuC+64] // *= alpha
v_mul_f32 v[vgprValuC+65], s[sgprAlpha], v[vgprValuC+65] // *= alpha
v_mul_f32 v[vgprValuC+68], s[sgprAlpha], v[vgprValuC+68] // *= alpha
v_mul_f32 v[vgprValuC+69], s[sgprAlpha], v[vgprValuC+69] // *= alpha
v_mul_f32 v[vgprValuC+74], s[sgprAlpha], v[vgprValuC+74] // *= alpha
v_mul_f32 v[vgprValuC+75], s[sgprAlpha], v[vgprValuC+75] // *= alpha
v_mul_f32 v[vgprValuC+78], s[sgprAlpha], v[vgprValuC+78] // *= alpha
v_mul_f32 v[vgprValuC+79], s[sgprAlpha], v[vgprValuC+79] // *= alpha
v_mul_f32 v[vgprValuC+84], s[sgprAlpha], v[vgprValuC+84] // *= alpha
v_mul_f32 v[vgprValuC+85], s[sgprAlpha], v[vgprValuC+85] // *= alpha
v_mul_f32 v[vgprValuC+88], s[sgprAlpha], v[vgprValuC+88] // *= alpha
v_mul_f32 v[vgprValuC+89], s[sgprAlpha], v[vgprValuC+89] // *= alpha
s_waitcnt vmcnt(0)                                 // wait C

/* apply mask, calc new C and issue writes */
v_mov_b32 v7, 0xffff0000                           // mask for pack two bfloat16 element to 32bit
v_mov_b32 v8, 0x7fff0000                           // fp32 Nan
v_mov_b32 v9, 0x7fff                               // rounding bias for bfloat16
v_lshlrev_b32 v4, 16, v12                          // convert bf16 to fp32
_v_mac_f32 v[vgprValuC+14], v4, s[sgprBeta]        // finalSum = sum*alpha + C*beta
v_and_b32 v4, v12, v7                              // convert bf16 to fp32
_v_mac_f32 v[vgprValuC+15], v4, s[sgprBeta]        // finalSum = sum*alpha + C*beta
v_cmp_u_f32 s[54:55], v[vgprValuC+14], v[vgprValuC+14] // check Nan
v_bfe_u32 v6, v[vgprValuC+14], 16, 1               // Non-Nan case: store lsb of bf16
v_add3_u32 v6, v[vgprValuC+14], v6, v9             // Non-Nan case: add lsb and the increment for rounding
v_cndmask_b32 v[vgprValuC+14], v6, v8, s[54:55]    // 
v_lshrrev_b32 v[vgprValuC+14], 16, v[vgprValuC+14] // convert C to bf16
v_cmp_u_f32 s[54:55], v[vgprValuC+15], v[vgprValuC+15] // check Nan
v_bfe_u32 v6, v[vgprValuC+15], 16, 1               // Non-Nan case: store lsb of bf16
v_add3_u32 v6, v[vgprValuC+15], v6, v9             // Non-Nan case: add lsb and the increment for rounding
v_cndmask_b32 v[vgprValuC+15], v6, v8, s[54:55]    // 
v_and_or_b32 v14, v[vgprValuC+15], v7, v[vgprValuC+14] // pack two bf16 to dword
v_lshlrev_b32 v4, 16, v17                          // convert bf16 to fp32
_v_mac_f32 v[vgprValuC+18], v4, s[sgprBeta]        // finalSum = sum*alpha + C*beta
v_and_b32 v4, v17, v7                              // convert bf16 to fp32
_v_mac_f32 v[vgprValuC+19], v4, s[sgprBeta]        // finalSum = sum*alpha + C*beta
v_cmp_u_f32 s[54:55], v[vgprValuC+18], v[vgprValuC+18] // check Nan
v_bfe_u32 v6, v[vgprValuC+18], 16, 1               // Non-Nan case: store lsb of bf16
v_add3_u32 v6, v[vgprValuC+18], v6, v9             // Non-Nan case: add lsb and the increment for rounding
v_cndmask_b32 v[vgprValuC+18], v6, v8, s[54:55]    // 
v_lshrrev_b32 v[vgprValuC+18], 16, v[vgprValuC+18] // convert C to bf16
v_cmp_u_f32 s[54:55], v[vgprValuC+19], v[vgprValuC+19] // check Nan
v_bfe_u32 v6, v[vgprValuC+19], 16, 1               // Non-Nan case: store lsb of bf16
v_add3_u32 v6, v[vgprValuC+19], v6, v9             // Non-Nan case: add lsb and the increment for rounding
v_cndmask_b32 v[vgprValuC+19], v6, v8, s[54:55]    // 
v_and_or_b32 v18, v[vgprValuC+19], v7, v[vgprValuC+18] // pack two bf16 to dword
	;; [unrolled: 14-line block ×16, first 2 shown]
_buffer_store_b32 v14, v10, s[sgprSrdD:sgprSrdD+3], 0, offen, offset:0 // store D
_buffer_store_b32 v18, v13, s[sgprSrdD:sgprSrdD+3], 0, offen, offset:0 // store D
	;; [unrolled: 1-line block ×16, first 2 shown]
s_nop 0                                            // 1 wait state required when next inst writes vgprs held by previous dwordx4 store inst
/* optSingleColVgpr=0 optSharedColVgpr=0 optSGPRUsage=BufferLoad_Edge_Mask optSrdIncForRow=0 */
s_sleep 3 // optimization: sync and wait
s_barrier

/******************************************/
/* Global Write Alpha Beta Edge Batch #6 (d1,d0,vc1,vc0) = */
/*    (12,0,0,0:vw2); (12,1,0,0:vw2); (12,0,1,0:vw2); (12,1,1,0:vw2); (12,0,2,0:vw2); (12,1,2,0:vw2); (12,0,3,0:vw2); (12,1,3,0:vw2); (13,0,0,0:vw2); (13,1,0,0:vw2); (13,0,1,0:vw2); (13,1,1,0:vw2); (13,0,2,0:vw2); (13,1,2,0:vw2); (13,0,3,0:vw2); (13,1,3,0:vw2) */
/******************************************/

/* calc coords, apply mask, and issue loads (if necessary) */
/* (d1,vc1,d0,vc0)=(12,0,0,0) */
_v_add_co_u32 v1, vcc, v1, 37                      // coord1.1: coord1Vgpr += d1*sg1*VW + vc1

/* Fix for UseInitialStridesCD, emitAddressSetupCode */
s_mul_i32 s54, s[sgprStrideC1J], 37                // scale stride
_v_add_u32 v2, v2, s54                             // ROWINC- Move cinRowPtr to next row
s_mul_i32 s54, s[sgprStrideD1J], 37                // scale stride
_v_add_u32 v3, v3, s54                             // Move coutRowPtr to next row
v_cmp_lt_u32 s[54:55], v0, s[sgprSizeI]            // coord0 < size0
v_cmp_lt_u32 s[58:59], v1, s[sgprSizeJ]            // coord1 < size1
s_and_b64 s[58:59], s[54:55], s[58:59]             // in0 && in1
_v_add_lshl_u32 v11, v2, v0, 0x1                   // scaleToBpe: accumulate d0 lower and *= bpe into Cin addr
v_cndmask_b32 v11, -1, v11, s[58:59]               // LDC clip if OOB. offset
_v_add_lshl_u32 v10, v3, v0, 0x1                   // scaleToBpe: accumulate d0 lower and *= bpe into Cin addr
v_cndmask_b32 v10, -1, v10, s[58:59]               // LDD clip if OOB. offset
/* (d1,vc1,d0,vc0)=(12,0,1,0) */
s_mov_b32 s54, 128                                 // coordOffset0 d0=1 vc0=0
_v_add_co_u32 v4, vcc, v0, s54                     // coord0.2: coord0 += d0*sg0*VW + vc0
v_cmp_lt_u32 s[54:55], v4, s[sgprSizeI]            // coord0 < size0
v_cmp_lt_u32 s[58:59], v1, s[sgprSizeJ]            // coord1 < size1
s_and_b64 s[58:59], s[54:55], s[58:59]             // in0 && in1
_v_add_lshl_u32 v16, v2, v4, 0x1                   // scaleToBpe: accumulate d0 lower and *= bpe into Cin addr
v_cndmask_b32 v16, -1, v16, s[58:59]               // LDC clip if OOB. offset
_v_add_lshl_u32 v13, v3, v4, 0x1                   // scaleToBpe: accumulate d0 lower and *= bpe into Cin addr
v_cndmask_b32 v13, -1, v13, s[58:59]               // LDD clip if OOB. offset
/* (d1,vc1,d0,vc0)=(12,1,0,0) */
_v_add_co_u32 v1, vcc, v1, 1                       // coord1.1: coord1Vgpr += d1*sg1*VW + vc1

/* Fix for UseInitialStridesCD, emitAddressSetupCode */
_v_add_u32 v2, v2, s[sgprStrideC1J]                // ROWINC- Move cinRowPtr to next row
_v_add_u32 v3, v3, s[sgprStrideD1J]                // Move coutRowPtr to next row
v_cmp_lt_u32 s[54:55], v0, s[sgprSizeI]            // coord0 < size0
v_cmp_lt_u32 s[58:59], v1, s[sgprSizeJ]            // coord1 < size1
s_and_b64 s[58:59], s[54:55], s[58:59]             // in0 && in1
_v_add_lshl_u32 v21, v2, v0, 0x1                   // scaleToBpe: accumulate d0 lower and *= bpe into Cin addr
v_cndmask_b32 v21, -1, v21, s[58:59]               // LDC clip if OOB. offset
_v_add_lshl_u32 v20, v3, v0, 0x1                   // scaleToBpe: accumulate d0 lower and *= bpe into Cin addr
v_cndmask_b32 v20, -1, v20, s[58:59]               // LDD clip if OOB. offset
/* (d1,vc1,d0,vc0)=(12,1,1,0) */
s_mov_b32 s54, 128                                 // coordOffset0 d0=1 vc0=0
_v_add_co_u32 v4, vcc, v0, s54                     // coord0.2: coord0 += d0*sg0*VW + vc0
v_cmp_lt_u32 s[54:55], v4, s[sgprSizeI]            // coord0 < size0
v_cmp_lt_u32 s[58:59], v1, s[sgprSizeJ]            // coord1 < size1
s_and_b64 s[58:59], s[54:55], s[58:59]             // in0 && in1
_v_add_lshl_u32 v26, v2, v4, 0x1                   // scaleToBpe: accumulate d0 lower and *= bpe into Cin addr
v_cndmask_b32 v26, -1, v26, s[58:59]               // LDC clip if OOB. offset
_v_add_lshl_u32 v23, v3, v4, 0x1                   // scaleToBpe: accumulate d0 lower and *= bpe into Cin addr
v_cndmask_b32 v23, -1, v23, s[58:59]               // LDD clip if OOB. offset
/* (d1,vc1,d0,vc0)=(12,2,0,0) */
_v_add_co_u32 v1, vcc, v1, 1                       // coord1.1: coord1Vgpr += d1*sg1*VW + vc1

/* Fix for UseInitialStridesCD, emitAddressSetupCode */
_v_add_u32 v2, v2, s[sgprStrideC1J]                // ROWINC- Move cinRowPtr to next row
_v_add_u32 v3, v3, s[sgprStrideD1J]                // Move coutRowPtr to next row
	;; [unrolled: 23-line block ×3, first 2 shown]
v_cmp_lt_u32 s[54:55], v0, s[sgprSizeI]            // coord0 < size0
v_cmp_lt_u32 s[58:59], v1, s[sgprSizeJ]            // coord1 < size1
s_and_b64 s[58:59], s[54:55], s[58:59]             // in0 && in1
_v_add_lshl_u32 v41, v2, v0, 0x1                   // scaleToBpe: accumulate d0 lower and *= bpe into Cin addr
v_cndmask_b32 v41, -1, v41, s[58:59]               // LDC clip if OOB. offset
_v_add_lshl_u32 v40, v3, v0, 0x1                   // scaleToBpe: accumulate d0 lower and *= bpe into Cin addr
v_cndmask_b32 v40, -1, v40, s[58:59]               // LDD clip if OOB. offset
/* (d1,vc1,d0,vc0)=(12,3,1,0) */
s_mov_b32 s54, 128                                 // coordOffset0 d0=1 vc0=0
_v_add_co_u32 v4, vcc, v0, s54                     // coord0.2: coord0 += d0*sg0*VW + vc0
v_cmp_lt_u32 s[54:55], v4, s[sgprSizeI]            // coord0 < size0
v_cmp_lt_u32 s[58:59], v1, s[sgprSizeJ]            // coord1 < size1
s_and_b64 s[58:59], s[54:55], s[58:59]             // in0 && in1
_v_add_lshl_u32 v46, v2, v4, 0x1                   // scaleToBpe: accumulate d0 lower and *= bpe into Cin addr
v_cndmask_b32 v46, -1, v46, s[58:59]               // LDC clip if OOB. offset
_v_add_lshl_u32 v43, v3, v4, 0x1                   // scaleToBpe: accumulate d0 lower and *= bpe into Cin addr
v_cndmask_b32 v43, -1, v43, s[58:59]               // LDD clip if OOB. offset
/* (d1,vc1,d0,vc0)=(13,0,0,0) */
_v_add_co_u32 v1, vcc, v1, 5                       // coord1.1: coord1Vgpr += d1*sg1*VW + vc1

/* Fix for UseInitialStridesCD, emitAddressSetupCode */
s_mul_i32 s54, s[sgprStrideC1J], 5                 // scale stride
_v_add_u32 v2, v2, s54                             // ROWINC- Move cinRowPtr to next row
s_mul_i32 s54, s[sgprStrideD1J], 5                 // scale stride
_v_add_u32 v3, v3, s54                             // Move coutRowPtr to next row
v_cmp_lt_u32 s[54:55], v0, s[sgprSizeI]            // coord0 < size0
v_cmp_lt_u32 s[58:59], v1, s[sgprSizeJ]            // coord1 < size1
s_and_b64 s[58:59], s[54:55], s[58:59]             // in0 && in1
_v_add_lshl_u32 v51, v2, v0, 0x1                   // scaleToBpe: accumulate d0 lower and *= bpe into Cin addr
v_cndmask_b32 v51, -1, v51, s[58:59]               // LDC clip if OOB. offset
_v_add_lshl_u32 v50, v3, v0, 0x1                   // scaleToBpe: accumulate d0 lower and *= bpe into Cin addr
v_cndmask_b32 v50, -1, v50, s[58:59]               // LDD clip if OOB. offset
/* (d1,vc1,d0,vc0)=(13,0,1,0) */
s_mov_b32 s54, 128                                 // coordOffset0 d0=1 vc0=0
_v_add_co_u32 v4, vcc, v0, s54                     // coord0.2: coord0 += d0*sg0*VW + vc0
v_cmp_lt_u32 s[54:55], v4, s[sgprSizeI]            // coord0 < size0
v_cmp_lt_u32 s[58:59], v1, s[sgprSizeJ]            // coord1 < size1
s_and_b64 s[58:59], s[54:55], s[58:59]             // in0 && in1
_v_add_lshl_u32 v56, v2, v4, 0x1                   // scaleToBpe: accumulate d0 lower and *= bpe into Cin addr
v_cndmask_b32 v56, -1, v56, s[58:59]               // LDC clip if OOB. offset
_v_add_lshl_u32 v53, v3, v4, 0x1                   // scaleToBpe: accumulate d0 lower and *= bpe into Cin addr
v_cndmask_b32 v53, -1, v53, s[58:59]               // LDD clip if OOB. offset
/* (d1,vc1,d0,vc0)=(13,1,0,0) */
_v_add_co_u32 v1, vcc, v1, 1                       // coord1.1: coord1Vgpr += d1*sg1*VW + vc1

/* Fix for UseInitialStridesCD, emitAddressSetupCode */
_v_add_u32 v2, v2, s[sgprStrideC1J]                // ROWINC- Move cinRowPtr to next row
_v_add_u32 v3, v3, s[sgprStrideD1J]                // Move coutRowPtr to next row
v_cmp_lt_u32 s[54:55], v0, s[sgprSizeI]            // coord0 < size0
v_cmp_lt_u32 s[58:59], v1, s[sgprSizeJ]            // coord1 < size1
s_and_b64 s[58:59], s[54:55], s[58:59]             // in0 && in1
_v_add_lshl_u32 v61, v2, v0, 0x1                   // scaleToBpe: accumulate d0 lower and *= bpe into Cin addr
v_cndmask_b32 v61, -1, v61, s[58:59]               // LDC clip if OOB. offset
_v_add_lshl_u32 v60, v3, v0, 0x1                   // scaleToBpe: accumulate d0 lower and *= bpe into Cin addr
v_cndmask_b32 v60, -1, v60, s[58:59]               // LDD clip if OOB. offset
/* (d1,vc1,d0,vc0)=(13,1,1,0) */
s_mov_b32 s54, 128                                 // coordOffset0 d0=1 vc0=0
_v_add_co_u32 v4, vcc, v0, s54                     // coord0.2: coord0 += d0*sg0*VW + vc0
v_cmp_lt_u32 s[54:55], v4, s[sgprSizeI]            // coord0 < size0
v_cmp_lt_u32 s[58:59], v1, s[sgprSizeJ]            // coord1 < size1
s_and_b64 s[58:59], s[54:55], s[58:59]             // in0 && in1
_v_add_lshl_u32 v66, v2, v4, 0x1                   // scaleToBpe: accumulate d0 lower and *= bpe into Cin addr
v_cndmask_b32 v66, -1, v66, s[58:59]               // LDC clip if OOB. offset
_v_add_lshl_u32 v63, v3, v4, 0x1                   // scaleToBpe: accumulate d0 lower and *= bpe into Cin addr
v_cndmask_b32 v63, -1, v63, s[58:59]               // LDD clip if OOB. offset
/* (d1,vc1,d0,vc0)=(13,2,0,0) */
_v_add_co_u32 v1, vcc, v1, 1                       // coord1.1: coord1Vgpr += d1*sg1*VW + vc1

/* Fix for UseInitialStridesCD, emitAddressSetupCode */
_v_add_u32 v2, v2, s[sgprStrideC1J]                // ROWINC- Move cinRowPtr to next row
_v_add_u32 v3, v3, s[sgprStrideD1J]                // Move coutRowPtr to next row
	;; [unrolled: 23-line block ×3, first 2 shown]
v_cmp_lt_u32 s[54:55], v0, s[sgprSizeI]            // coord0 < size0
v_cmp_lt_u32 s[58:59], v1, s[sgprSizeJ]            // coord1 < size1
s_and_b64 s[58:59], s[54:55], s[58:59]             // in0 && in1
_v_add_lshl_u32 v81, v2, v0, 0x1                   // scaleToBpe: accumulate d0 lower and *= bpe into Cin addr
v_cndmask_b32 v81, -1, v81, s[58:59]               // LDC clip if OOB. offset
_v_add_lshl_u32 v80, v3, v0, 0x1                   // scaleToBpe: accumulate d0 lower and *= bpe into Cin addr
v_cndmask_b32 v80, -1, v80, s[58:59]               // LDD clip if OOB. offset
/* (d1,vc1,d0,vc0)=(13,3,1,0) */
s_mov_b32 s54, 128                                 // coordOffset0 d0=1 vc0=0
_v_add_co_u32 v4, vcc, v0, s54                     // coord0.2: coord0 += d0*sg0*VW + vc0
v_cmp_lt_u32 s[54:55], v4, s[sgprSizeI]            // coord0 < size0
v_cmp_lt_u32 s[58:59], v1, s[sgprSizeJ]            // coord1 < size1
s_and_b64 s[58:59], s[54:55], s[58:59]             // in0 && in1
_v_add_lshl_u32 v86, v2, v4, 0x1                   // scaleToBpe: accumulate d0 lower and *= bpe into Cin addr
v_cndmask_b32 v86, -1, v86, s[58:59]               // LDC clip if OOB. offset
_v_add_lshl_u32 v83, v3, v4, 0x1                   // scaleToBpe: accumulate d0 lower and *= bpe into Cin addr
v_cndmask_b32 v83, -1, v83, s[58:59]               // LDD clip if OOB. offset
_buffer_load_b32 v12, v11, s[sgprSrdC:sgprSrdC+3], 0, offen offset:0 // load C for beta calc
_buffer_load_b32 v17, v16, s[sgprSrdC:sgprSrdC+3], 0, offen offset:0 // load C for beta calc
	;; [unrolled: 1-line block ×16, first 2 shown]
s_sleep 3 // optimization: sync and wait
s_barrier
v_accvgpr_read_b32 v[vgprValuC+14], acc192 // copy acc to vreg[192]
v_accvgpr_read_b32 v[vgprValuC+15], acc208 // copy acc to vreg[193]
v_accvgpr_read_b32 v[vgprValuC+18], acc224 // copy acc to vreg[194]
v_accvgpr_read_b32 v[vgprValuC+19], acc240 // copy acc to vreg[195]
v_accvgpr_read_b32 v[vgprValuC+24], acc193 // copy acc to vreg[196]
v_accvgpr_read_b32 v[vgprValuC+25], acc209 // copy acc to vreg[197]
v_accvgpr_read_b32 v[vgprValuC+28], acc225 // copy acc to vreg[198]
v_accvgpr_read_b32 v[vgprValuC+29], acc241 // copy acc to vreg[199]
v_accvgpr_read_b32 v[vgprValuC+34], acc194 // copy acc to vreg[200]
v_accvgpr_read_b32 v[vgprValuC+35], acc210 // copy acc to vreg[201]
v_accvgpr_read_b32 v[vgprValuC+38], acc226 // copy acc to vreg[202]
v_accvgpr_read_b32 v[vgprValuC+39], acc242 // copy acc to vreg[203]
v_accvgpr_read_b32 v[vgprValuC+44], acc195 // copy acc to vreg[204]
v_accvgpr_read_b32 v[vgprValuC+45], acc211 // copy acc to vreg[205]
v_accvgpr_read_b32 v[vgprValuC+48], acc227 // copy acc to vreg[206]
v_accvgpr_read_b32 v[vgprValuC+49], acc243 // copy acc to vreg[207]
v_accvgpr_read_b32 v[vgprValuC+54], acc196 // copy acc to vreg[208]
v_accvgpr_read_b32 v[vgprValuC+55], acc212 // copy acc to vreg[209]
v_accvgpr_read_b32 v[vgprValuC+58], acc228 // copy acc to vreg[210]
v_accvgpr_read_b32 v[vgprValuC+59], acc244 // copy acc to vreg[211]
v_accvgpr_read_b32 v[vgprValuC+64], acc197 // copy acc to vreg[212]
v_accvgpr_read_b32 v[vgprValuC+65], acc213 // copy acc to vreg[213]
v_accvgpr_read_b32 v[vgprValuC+68], acc229 // copy acc to vreg[214]
v_accvgpr_read_b32 v[vgprValuC+69], acc245 // copy acc to vreg[215]
v_accvgpr_read_b32 v[vgprValuC+74], acc198 // copy acc to vreg[216]
v_accvgpr_read_b32 v[vgprValuC+75], acc214 // copy acc to vreg[217]
v_accvgpr_read_b32 v[vgprValuC+78], acc230 // copy acc to vreg[218]
v_accvgpr_read_b32 v[vgprValuC+79], acc246 // copy acc to vreg[219]
v_accvgpr_read_b32 v[vgprValuC+84], acc199 // copy acc to vreg[220]
v_accvgpr_read_b32 v[vgprValuC+85], acc215 // copy acc to vreg[221]
v_accvgpr_read_b32 v[vgprValuC+88], acc231 // copy acc to vreg[222]
v_accvgpr_read_b32 v[vgprValuC+89], acc247 // copy acc to vreg[223]
s_nop 1                                            // 2 wait states required before reading vgpr

/* rC *= alpha batchElements=[(12, 0, 0, 0), (12, 1, 0, 0), (12, 0, 1, 0), (12, 1, 1, 0), (12, 0, 2, 0), (12, 1, 2, 0), (12, 0, 3, 0), (12, 1, 3, 0), (13, 0, 0, 0), (13, 1, 0, 0), (13, 0, 1, 0), (13, 1, 1, 0), (13, 0, 2, 0), (13, 1, 2, 0), (13, 0, 3, 0), (13, 1, 3, 0)] */
v_mul_f32 v[vgprValuC+14], s[sgprAlpha], v[vgprValuC+14] // *= alpha
v_mul_f32 v[vgprValuC+15], s[sgprAlpha], v[vgprValuC+15] // *= alpha
v_mul_f32 v[vgprValuC+18], s[sgprAlpha], v[vgprValuC+18] // *= alpha
v_mul_f32 v[vgprValuC+19], s[sgprAlpha], v[vgprValuC+19] // *= alpha
v_mul_f32 v[vgprValuC+24], s[sgprAlpha], v[vgprValuC+24] // *= alpha
v_mul_f32 v[vgprValuC+25], s[sgprAlpha], v[vgprValuC+25] // *= alpha
v_mul_f32 v[vgprValuC+28], s[sgprAlpha], v[vgprValuC+28] // *= alpha
v_mul_f32 v[vgprValuC+29], s[sgprAlpha], v[vgprValuC+29] // *= alpha
v_mul_f32 v[vgprValuC+34], s[sgprAlpha], v[vgprValuC+34] // *= alpha
v_mul_f32 v[vgprValuC+35], s[sgprAlpha], v[vgprValuC+35] // *= alpha
v_mul_f32 v[vgprValuC+38], s[sgprAlpha], v[vgprValuC+38] // *= alpha
v_mul_f32 v[vgprValuC+39], s[sgprAlpha], v[vgprValuC+39] // *= alpha
v_mul_f32 v[vgprValuC+44], s[sgprAlpha], v[vgprValuC+44] // *= alpha
v_mul_f32 v[vgprValuC+45], s[sgprAlpha], v[vgprValuC+45] // *= alpha
v_mul_f32 v[vgprValuC+48], s[sgprAlpha], v[vgprValuC+48] // *= alpha
v_mul_f32 v[vgprValuC+49], s[sgprAlpha], v[vgprValuC+49] // *= alpha
v_mul_f32 v[vgprValuC+54], s[sgprAlpha], v[vgprValuC+54] // *= alpha
v_mul_f32 v[vgprValuC+55], s[sgprAlpha], v[vgprValuC+55] // *= alpha
v_mul_f32 v[vgprValuC+58], s[sgprAlpha], v[vgprValuC+58] // *= alpha
v_mul_f32 v[vgprValuC+59], s[sgprAlpha], v[vgprValuC+59] // *= alpha
v_mul_f32 v[vgprValuC+64], s[sgprAlpha], v[vgprValuC+64] // *= alpha
v_mul_f32 v[vgprValuC+65], s[sgprAlpha], v[vgprValuC+65] // *= alpha
v_mul_f32 v[vgprValuC+68], s[sgprAlpha], v[vgprValuC+68] // *= alpha
v_mul_f32 v[vgprValuC+69], s[sgprAlpha], v[vgprValuC+69] // *= alpha
v_mul_f32 v[vgprValuC+74], s[sgprAlpha], v[vgprValuC+74] // *= alpha
v_mul_f32 v[vgprValuC+75], s[sgprAlpha], v[vgprValuC+75] // *= alpha
v_mul_f32 v[vgprValuC+78], s[sgprAlpha], v[vgprValuC+78] // *= alpha
v_mul_f32 v[vgprValuC+79], s[sgprAlpha], v[vgprValuC+79] // *= alpha
v_mul_f32 v[vgprValuC+84], s[sgprAlpha], v[vgprValuC+84] // *= alpha
v_mul_f32 v[vgprValuC+85], s[sgprAlpha], v[vgprValuC+85] // *= alpha
v_mul_f32 v[vgprValuC+88], s[sgprAlpha], v[vgprValuC+88] // *= alpha
v_mul_f32 v[vgprValuC+89], s[sgprAlpha], v[vgprValuC+89] // *= alpha
s_waitcnt vmcnt(0)                                 // wait C

/* apply mask, calc new C and issue writes */
v_mov_b32 v7, 0xffff0000                           // mask for pack two bfloat16 element to 32bit
v_mov_b32 v8, 0x7fff0000                           // fp32 Nan
v_mov_b32 v9, 0x7fff                               // rounding bias for bfloat16
v_lshlrev_b32 v4, 16, v12                          // convert bf16 to fp32
_v_mac_f32 v[vgprValuC+14], v4, s[sgprBeta]        // finalSum = sum*alpha + C*beta
v_and_b32 v4, v12, v7                              // convert bf16 to fp32
_v_mac_f32 v[vgprValuC+15], v4, s[sgprBeta]        // finalSum = sum*alpha + C*beta
v_cmp_u_f32 s[54:55], v[vgprValuC+14], v[vgprValuC+14] // check Nan
v_bfe_u32 v6, v[vgprValuC+14], 16, 1               // Non-Nan case: store lsb of bf16
v_add3_u32 v6, v[vgprValuC+14], v6, v9             // Non-Nan case: add lsb and the increment for rounding
v_cndmask_b32 v[vgprValuC+14], v6, v8, s[54:55]    // 
v_lshrrev_b32 v[vgprValuC+14], 16, v[vgprValuC+14] // convert C to bf16
v_cmp_u_f32 s[54:55], v[vgprValuC+15], v[vgprValuC+15] // check Nan
v_bfe_u32 v6, v[vgprValuC+15], 16, 1               // Non-Nan case: store lsb of bf16
v_add3_u32 v6, v[vgprValuC+15], v6, v9             // Non-Nan case: add lsb and the increment for rounding
v_cndmask_b32 v[vgprValuC+15], v6, v8, s[54:55]    // 
v_and_or_b32 v14, v[vgprValuC+15], v7, v[vgprValuC+14] // pack two bf16 to dword
v_lshlrev_b32 v4, 16, v17                          // convert bf16 to fp32
_v_mac_f32 v[vgprValuC+18], v4, s[sgprBeta]        // finalSum = sum*alpha + C*beta
v_and_b32 v4, v17, v7                              // convert bf16 to fp32
_v_mac_f32 v[vgprValuC+19], v4, s[sgprBeta]        // finalSum = sum*alpha + C*beta
v_cmp_u_f32 s[54:55], v[vgprValuC+18], v[vgprValuC+18] // check Nan
v_bfe_u32 v6, v[vgprValuC+18], 16, 1               // Non-Nan case: store lsb of bf16
v_add3_u32 v6, v[vgprValuC+18], v6, v9             // Non-Nan case: add lsb and the increment for rounding
v_cndmask_b32 v[vgprValuC+18], v6, v8, s[54:55]    // 
v_lshrrev_b32 v[vgprValuC+18], 16, v[vgprValuC+18] // convert C to bf16
v_cmp_u_f32 s[54:55], v[vgprValuC+19], v[vgprValuC+19] // check Nan
v_bfe_u32 v6, v[vgprValuC+19], 16, 1               // Non-Nan case: store lsb of bf16
v_add3_u32 v6, v[vgprValuC+19], v6, v9             // Non-Nan case: add lsb and the increment for rounding
v_cndmask_b32 v[vgprValuC+19], v6, v8, s[54:55]    // 
v_and_or_b32 v18, v[vgprValuC+19], v7, v[vgprValuC+18] // pack two bf16 to dword
	;; [unrolled: 14-line block ×16, first 2 shown]
_buffer_store_b32 v14, v10, s[sgprSrdD:sgprSrdD+3], 0, offen, offset:0 // store D
_buffer_store_b32 v18, v13, s[sgprSrdD:sgprSrdD+3], 0, offen, offset:0 // store D
	;; [unrolled: 1-line block ×16, first 2 shown]
s_nop 0                                            // 1 wait state required when next inst writes vgprs held by previous dwordx4 store inst
/* optSingleColVgpr=0 optSharedColVgpr=0 optSGPRUsage=BufferLoad_Edge_Mask optSrdIncForRow=0 */
s_sleep 3 // optimization: sync and wait
s_barrier

/******************************************/
/* Global Write Alpha Beta Edge Batch #7 (d1,d0,vc1,vc0) = */
/*    (14,0,0,0:vw2); (14,1,0,0:vw2); (14,0,1,0:vw2); (14,1,1,0:vw2); (14,0,2,0:vw2); (14,1,2,0:vw2); (14,0,3,0:vw2); (14,1,3,0:vw2); (15,0,0,0:vw2); (15,1,0,0:vw2); (15,0,1,0:vw2); (15,1,1,0:vw2); (15,0,2,0:vw2); (15,1,2,0:vw2); (15,0,3,0:vw2); (15,1,3,0:vw2) */
/******************************************/

/* calc coords, apply mask, and issue loads (if necessary) */
/* (d1,vc1,d0,vc0)=(14,0,0,0) */
_v_add_co_u32 v1, vcc, v1, 5                       // coord1.1: coord1Vgpr += d1*sg1*VW + vc1

/* Fix for UseInitialStridesCD, emitAddressSetupCode */
s_mul_i32 s54, s[sgprStrideC1J], 5                 // scale stride
_v_add_u32 v2, v2, s54                             // ROWINC- Move cinRowPtr to next row
s_mul_i32 s54, s[sgprStrideD1J], 5                 // scale stride
_v_add_u32 v3, v3, s54                             // Move coutRowPtr to next row
v_cmp_lt_u32 s[54:55], v0, s[sgprSizeI]            // coord0 < size0
v_cmp_lt_u32 s[58:59], v1, s[sgprSizeJ]            // coord1 < size1
s_and_b64 s[58:59], s[54:55], s[58:59]             // in0 && in1
_v_add_lshl_u32 v11, v2, v0, 0x1                   // scaleToBpe: accumulate d0 lower and *= bpe into Cin addr
v_cndmask_b32 v11, -1, v11, s[58:59]               // LDC clip if OOB. offset
_v_add_lshl_u32 v10, v3, v0, 0x1                   // scaleToBpe: accumulate d0 lower and *= bpe into Cin addr
v_cndmask_b32 v10, -1, v10, s[58:59]               // LDD clip if OOB. offset
/* (d1,vc1,d0,vc0)=(14,0,1,0) */
s_mov_b32 s54, 128                                 // coordOffset0 d0=1 vc0=0
_v_add_co_u32 v4, vcc, v0, s54                     // coord0.2: coord0 += d0*sg0*VW + vc0
v_cmp_lt_u32 s[54:55], v4, s[sgprSizeI]            // coord0 < size0
v_cmp_lt_u32 s[58:59], v1, s[sgprSizeJ]            // coord1 < size1
s_and_b64 s[58:59], s[54:55], s[58:59]             // in0 && in1
_v_add_lshl_u32 v16, v2, v4, 0x1                   // scaleToBpe: accumulate d0 lower and *= bpe into Cin addr
v_cndmask_b32 v16, -1, v16, s[58:59]               // LDC clip if OOB. offset
_v_add_lshl_u32 v13, v3, v4, 0x1                   // scaleToBpe: accumulate d0 lower and *= bpe into Cin addr
v_cndmask_b32 v13, -1, v13, s[58:59]               // LDD clip if OOB. offset
/* (d1,vc1,d0,vc0)=(14,1,0,0) */
_v_add_co_u32 v1, vcc, v1, 1                       // coord1.1: coord1Vgpr += d1*sg1*VW + vc1

/* Fix for UseInitialStridesCD, emitAddressSetupCode */
_v_add_u32 v2, v2, s[sgprStrideC1J]                // ROWINC- Move cinRowPtr to next row
_v_add_u32 v3, v3, s[sgprStrideD1J]                // Move coutRowPtr to next row
v_cmp_lt_u32 s[54:55], v0, s[sgprSizeI]            // coord0 < size0
v_cmp_lt_u32 s[58:59], v1, s[sgprSizeJ]            // coord1 < size1
s_and_b64 s[58:59], s[54:55], s[58:59]             // in0 && in1
_v_add_lshl_u32 v21, v2, v0, 0x1                   // scaleToBpe: accumulate d0 lower and *= bpe into Cin addr
v_cndmask_b32 v21, -1, v21, s[58:59]               // LDC clip if OOB. offset
_v_add_lshl_u32 v20, v3, v0, 0x1                   // scaleToBpe: accumulate d0 lower and *= bpe into Cin addr
v_cndmask_b32 v20, -1, v20, s[58:59]               // LDD clip if OOB. offset
/* (d1,vc1,d0,vc0)=(14,1,1,0) */
s_mov_b32 s54, 128                                 // coordOffset0 d0=1 vc0=0
_v_add_co_u32 v4, vcc, v0, s54                     // coord0.2: coord0 += d0*sg0*VW + vc0
v_cmp_lt_u32 s[54:55], v4, s[sgprSizeI]            // coord0 < size0
v_cmp_lt_u32 s[58:59], v1, s[sgprSizeJ]            // coord1 < size1
s_and_b64 s[58:59], s[54:55], s[58:59]             // in0 && in1
_v_add_lshl_u32 v26, v2, v4, 0x1                   // scaleToBpe: accumulate d0 lower and *= bpe into Cin addr
v_cndmask_b32 v26, -1, v26, s[58:59]               // LDC clip if OOB. offset
_v_add_lshl_u32 v23, v3, v4, 0x1                   // scaleToBpe: accumulate d0 lower and *= bpe into Cin addr
v_cndmask_b32 v23, -1, v23, s[58:59]               // LDD clip if OOB. offset
/* (d1,vc1,d0,vc0)=(14,2,0,0) */
_v_add_co_u32 v1, vcc, v1, 1                       // coord1.1: coord1Vgpr += d1*sg1*VW + vc1

/* Fix for UseInitialStridesCD, emitAddressSetupCode */
_v_add_u32 v2, v2, s[sgprStrideC1J]                // ROWINC- Move cinRowPtr to next row
_v_add_u32 v3, v3, s[sgprStrideD1J]                // Move coutRowPtr to next row
	;; [unrolled: 23-line block ×3, first 2 shown]
v_cmp_lt_u32 s[54:55], v0, s[sgprSizeI]            // coord0 < size0
v_cmp_lt_u32 s[58:59], v1, s[sgprSizeJ]            // coord1 < size1
s_and_b64 s[58:59], s[54:55], s[58:59]             // in0 && in1
_v_add_lshl_u32 v41, v2, v0, 0x1                   // scaleToBpe: accumulate d0 lower and *= bpe into Cin addr
v_cndmask_b32 v41, -1, v41, s[58:59]               // LDC clip if OOB. offset
_v_add_lshl_u32 v40, v3, v0, 0x1                   // scaleToBpe: accumulate d0 lower and *= bpe into Cin addr
v_cndmask_b32 v40, -1, v40, s[58:59]               // LDD clip if OOB. offset
/* (d1,vc1,d0,vc0)=(14,3,1,0) */
s_mov_b32 s54, 128                                 // coordOffset0 d0=1 vc0=0
_v_add_co_u32 v4, vcc, v0, s54                     // coord0.2: coord0 += d0*sg0*VW + vc0
v_cmp_lt_u32 s[54:55], v4, s[sgprSizeI]            // coord0 < size0
v_cmp_lt_u32 s[58:59], v1, s[sgprSizeJ]            // coord1 < size1
s_and_b64 s[58:59], s[54:55], s[58:59]             // in0 && in1
_v_add_lshl_u32 v46, v2, v4, 0x1                   // scaleToBpe: accumulate d0 lower and *= bpe into Cin addr
v_cndmask_b32 v46, -1, v46, s[58:59]               // LDC clip if OOB. offset
_v_add_lshl_u32 v43, v3, v4, 0x1                   // scaleToBpe: accumulate d0 lower and *= bpe into Cin addr
v_cndmask_b32 v43, -1, v43, s[58:59]               // LDD clip if OOB. offset
/* (d1,vc1,d0,vc0)=(15,0,0,0) */
_v_add_co_u32 v1, vcc, v1, 5                       // coord1.1: coord1Vgpr += d1*sg1*VW + vc1

/* Fix for UseInitialStridesCD, emitAddressSetupCode */
s_mul_i32 s54, s[sgprStrideC1J], 5                 // scale stride
_v_add_u32 v2, v2, s54                             // ROWINC- Move cinRowPtr to next row
s_mul_i32 s54, s[sgprStrideD1J], 5                 // scale stride
_v_add_u32 v3, v3, s54                             // Move coutRowPtr to next row
v_cmp_lt_u32 s[54:55], v0, s[sgprSizeI]            // coord0 < size0
v_cmp_lt_u32 s[58:59], v1, s[sgprSizeJ]            // coord1 < size1
s_and_b64 s[58:59], s[54:55], s[58:59]             // in0 && in1
_v_add_lshl_u32 v51, v2, v0, 0x1                   // scaleToBpe: accumulate d0 lower and *= bpe into Cin addr
v_cndmask_b32 v51, -1, v51, s[58:59]               // LDC clip if OOB. offset
_v_add_lshl_u32 v50, v3, v0, 0x1                   // scaleToBpe: accumulate d0 lower and *= bpe into Cin addr
v_cndmask_b32 v50, -1, v50, s[58:59]               // LDD clip if OOB. offset
/* (d1,vc1,d0,vc0)=(15,0,1,0) */
s_mov_b32 s54, 128                                 // coordOffset0 d0=1 vc0=0
_v_add_co_u32 v4, vcc, v0, s54                     // coord0.2: coord0 += d0*sg0*VW + vc0
v_cmp_lt_u32 s[54:55], v4, s[sgprSizeI]            // coord0 < size0
v_cmp_lt_u32 s[58:59], v1, s[sgprSizeJ]            // coord1 < size1
s_and_b64 s[58:59], s[54:55], s[58:59]             // in0 && in1
_v_add_lshl_u32 v56, v2, v4, 0x1                   // scaleToBpe: accumulate d0 lower and *= bpe into Cin addr
v_cndmask_b32 v56, -1, v56, s[58:59]               // LDC clip if OOB. offset
_v_add_lshl_u32 v53, v3, v4, 0x1                   // scaleToBpe: accumulate d0 lower and *= bpe into Cin addr
v_cndmask_b32 v53, -1, v53, s[58:59]               // LDD clip if OOB. offset
/* (d1,vc1,d0,vc0)=(15,1,0,0) */
_v_add_co_u32 v1, vcc, v1, 1                       // coord1.1: coord1Vgpr += d1*sg1*VW + vc1

/* Fix for UseInitialStridesCD, emitAddressSetupCode */
_v_add_u32 v2, v2, s[sgprStrideC1J]                // ROWINC- Move cinRowPtr to next row
_v_add_u32 v3, v3, s[sgprStrideD1J]                // Move coutRowPtr to next row
v_cmp_lt_u32 s[54:55], v0, s[sgprSizeI]            // coord0 < size0
v_cmp_lt_u32 s[58:59], v1, s[sgprSizeJ]            // coord1 < size1
s_and_b64 s[58:59], s[54:55], s[58:59]             // in0 && in1
_v_add_lshl_u32 v61, v2, v0, 0x1                   // scaleToBpe: accumulate d0 lower and *= bpe into Cin addr
v_cndmask_b32 v61, -1, v61, s[58:59]               // LDC clip if OOB. offset
_v_add_lshl_u32 v60, v3, v0, 0x1                   // scaleToBpe: accumulate d0 lower and *= bpe into Cin addr
v_cndmask_b32 v60, -1, v60, s[58:59]               // LDD clip if OOB. offset
/* (d1,vc1,d0,vc0)=(15,1,1,0) */
s_mov_b32 s54, 128                                 // coordOffset0 d0=1 vc0=0
_v_add_co_u32 v4, vcc, v0, s54                     // coord0.2: coord0 += d0*sg0*VW + vc0
v_cmp_lt_u32 s[54:55], v4, s[sgprSizeI]            // coord0 < size0
v_cmp_lt_u32 s[58:59], v1, s[sgprSizeJ]            // coord1 < size1
s_and_b64 s[58:59], s[54:55], s[58:59]             // in0 && in1
_v_add_lshl_u32 v66, v2, v4, 0x1                   // scaleToBpe: accumulate d0 lower and *= bpe into Cin addr
v_cndmask_b32 v66, -1, v66, s[58:59]               // LDC clip if OOB. offset
_v_add_lshl_u32 v63, v3, v4, 0x1                   // scaleToBpe: accumulate d0 lower and *= bpe into Cin addr
v_cndmask_b32 v63, -1, v63, s[58:59]               // LDD clip if OOB. offset
/* (d1,vc1,d0,vc0)=(15,2,0,0) */
_v_add_co_u32 v1, vcc, v1, 1                       // coord1.1: coord1Vgpr += d1*sg1*VW + vc1

/* Fix for UseInitialStridesCD, emitAddressSetupCode */
_v_add_u32 v2, v2, s[sgprStrideC1J]                // ROWINC- Move cinRowPtr to next row
_v_add_u32 v3, v3, s[sgprStrideD1J]                // Move coutRowPtr to next row
	;; [unrolled: 23-line block ×3, first 2 shown]
v_cmp_lt_u32 s[54:55], v0, s[sgprSizeI]            // coord0 < size0
v_cmp_lt_u32 s[58:59], v1, s[sgprSizeJ]            // coord1 < size1
s_and_b64 s[58:59], s[54:55], s[58:59]             // in0 && in1
_v_add_lshl_u32 v81, v2, v0, 0x1                   // scaleToBpe: accumulate d0 lower and *= bpe into Cin addr
v_cndmask_b32 v81, -1, v81, s[58:59]               // LDC clip if OOB. offset
_v_add_lshl_u32 v80, v3, v0, 0x1                   // scaleToBpe: accumulate d0 lower and *= bpe into Cin addr
v_cndmask_b32 v80, -1, v80, s[58:59]               // LDD clip if OOB. offset
/* (d1,vc1,d0,vc0)=(15,3,1,0) */
s_mov_b32 s54, 128                                 // coordOffset0 d0=1 vc0=0
_v_add_co_u32 v4, vcc, v0, s54                     // coord0.2: coord0 += d0*sg0*VW + vc0
v_cmp_lt_u32 s[54:55], v4, s[sgprSizeI]            // coord0 < size0
v_cmp_lt_u32 s[58:59], v1, s[sgprSizeJ]            // coord1 < size1
s_and_b64 s[58:59], s[54:55], s[58:59]             // in0 && in1
_v_add_lshl_u32 v86, v2, v4, 0x1                   // scaleToBpe: accumulate d0 lower and *= bpe into Cin addr
v_cndmask_b32 v86, -1, v86, s[58:59]               // LDC clip if OOB. offset
_v_add_lshl_u32 v83, v3, v4, 0x1                   // scaleToBpe: accumulate d0 lower and *= bpe into Cin addr
v_cndmask_b32 v83, -1, v83, s[58:59]               // LDD clip if OOB. offset
_buffer_load_b32 v12, v11, s[sgprSrdC:sgprSrdC+3], 0, offen offset:0 // load C for beta calc
_buffer_load_b32 v17, v16, s[sgprSrdC:sgprSrdC+3], 0, offen offset:0 // load C for beta calc
	;; [unrolled: 1-line block ×16, first 2 shown]
s_sleep 3 // optimization: sync and wait
s_barrier
v_accvgpr_read_b32 v[vgprValuC+14], acc200 // copy acc to vreg[224]
v_accvgpr_read_b32 v[vgprValuC+15], acc216 // copy acc to vreg[225]
v_accvgpr_read_b32 v[vgprValuC+18], acc232 // copy acc to vreg[226]
v_accvgpr_read_b32 v[vgprValuC+19], acc248 // copy acc to vreg[227]
v_accvgpr_read_b32 v[vgprValuC+24], acc201 // copy acc to vreg[228]
v_accvgpr_read_b32 v[vgprValuC+25], acc217 // copy acc to vreg[229]
v_accvgpr_read_b32 v[vgprValuC+28], acc233 // copy acc to vreg[230]
v_accvgpr_read_b32 v[vgprValuC+29], acc249 // copy acc to vreg[231]
v_accvgpr_read_b32 v[vgprValuC+34], acc202 // copy acc to vreg[232]
v_accvgpr_read_b32 v[vgprValuC+35], acc218 // copy acc to vreg[233]
v_accvgpr_read_b32 v[vgprValuC+38], acc234 // copy acc to vreg[234]
v_accvgpr_read_b32 v[vgprValuC+39], acc250 // copy acc to vreg[235]
v_accvgpr_read_b32 v[vgprValuC+44], acc203 // copy acc to vreg[236]
v_accvgpr_read_b32 v[vgprValuC+45], acc219 // copy acc to vreg[237]
v_accvgpr_read_b32 v[vgprValuC+48], acc235 // copy acc to vreg[238]
v_accvgpr_read_b32 v[vgprValuC+49], acc251 // copy acc to vreg[239]
v_accvgpr_read_b32 v[vgprValuC+54], acc204 // copy acc to vreg[240]
v_accvgpr_read_b32 v[vgprValuC+55], acc220 // copy acc to vreg[241]
v_accvgpr_read_b32 v[vgprValuC+58], acc236 // copy acc to vreg[242]
v_accvgpr_read_b32 v[vgprValuC+59], acc252 // copy acc to vreg[243]
v_accvgpr_read_b32 v[vgprValuC+64], acc205 // copy acc to vreg[244]
v_accvgpr_read_b32 v[vgprValuC+65], acc221 // copy acc to vreg[245]
v_accvgpr_read_b32 v[vgprValuC+68], acc237 // copy acc to vreg[246]
v_accvgpr_read_b32 v[vgprValuC+69], acc253 // copy acc to vreg[247]
v_accvgpr_read_b32 v[vgprValuC+74], acc206 // copy acc to vreg[248]
v_accvgpr_read_b32 v[vgprValuC+75], acc222 // copy acc to vreg[249]
v_accvgpr_read_b32 v[vgprValuC+78], acc238 // copy acc to vreg[250]
v_accvgpr_read_b32 v[vgprValuC+79], acc254 // copy acc to vreg[251]
v_accvgpr_read_b32 v[vgprValuC+84], acc207 // copy acc to vreg[252]
v_accvgpr_read_b32 v[vgprValuC+85], acc223 // copy acc to vreg[253]
v_accvgpr_read_b32 v[vgprValuC+88], acc239 // copy acc to vreg[254]
v_accvgpr_read_b32 v[vgprValuC+89], acc255 // copy acc to vreg[255]
s_nop 1                                            // 2 wait states required before reading vgpr

/* rC *= alpha batchElements=[(14, 0, 0, 0), (14, 1, 0, 0), (14, 0, 1, 0), (14, 1, 1, 0), (14, 0, 2, 0), (14, 1, 2, 0), (14, 0, 3, 0), (14, 1, 3, 0), (15, 0, 0, 0), (15, 1, 0, 0), (15, 0, 1, 0), (15, 1, 1, 0), (15, 0, 2, 0), (15, 1, 2, 0), (15, 0, 3, 0), (15, 1, 3, 0)] */
v_mul_f32 v[vgprValuC+14], s[sgprAlpha], v[vgprValuC+14] // *= alpha
v_mul_f32 v[vgprValuC+15], s[sgprAlpha], v[vgprValuC+15] // *= alpha
v_mul_f32 v[vgprValuC+18], s[sgprAlpha], v[vgprValuC+18] // *= alpha
v_mul_f32 v[vgprValuC+19], s[sgprAlpha], v[vgprValuC+19] // *= alpha
v_mul_f32 v[vgprValuC+24], s[sgprAlpha], v[vgprValuC+24] // *= alpha
v_mul_f32 v[vgprValuC+25], s[sgprAlpha], v[vgprValuC+25] // *= alpha
v_mul_f32 v[vgprValuC+28], s[sgprAlpha], v[vgprValuC+28] // *= alpha
v_mul_f32 v[vgprValuC+29], s[sgprAlpha], v[vgprValuC+29] // *= alpha
v_mul_f32 v[vgprValuC+34], s[sgprAlpha], v[vgprValuC+34] // *= alpha
v_mul_f32 v[vgprValuC+35], s[sgprAlpha], v[vgprValuC+35] // *= alpha
v_mul_f32 v[vgprValuC+38], s[sgprAlpha], v[vgprValuC+38] // *= alpha
v_mul_f32 v[vgprValuC+39], s[sgprAlpha], v[vgprValuC+39] // *= alpha
v_mul_f32 v[vgprValuC+44], s[sgprAlpha], v[vgprValuC+44] // *= alpha
v_mul_f32 v[vgprValuC+45], s[sgprAlpha], v[vgprValuC+45] // *= alpha
v_mul_f32 v[vgprValuC+48], s[sgprAlpha], v[vgprValuC+48] // *= alpha
v_mul_f32 v[vgprValuC+49], s[sgprAlpha], v[vgprValuC+49] // *= alpha
v_mul_f32 v[vgprValuC+54], s[sgprAlpha], v[vgprValuC+54] // *= alpha
v_mul_f32 v[vgprValuC+55], s[sgprAlpha], v[vgprValuC+55] // *= alpha
v_mul_f32 v[vgprValuC+58], s[sgprAlpha], v[vgprValuC+58] // *= alpha
v_mul_f32 v[vgprValuC+59], s[sgprAlpha], v[vgprValuC+59] // *= alpha
v_mul_f32 v[vgprValuC+64], s[sgprAlpha], v[vgprValuC+64] // *= alpha
v_mul_f32 v[vgprValuC+65], s[sgprAlpha], v[vgprValuC+65] // *= alpha
v_mul_f32 v[vgprValuC+68], s[sgprAlpha], v[vgprValuC+68] // *= alpha
v_mul_f32 v[vgprValuC+69], s[sgprAlpha], v[vgprValuC+69] // *= alpha
v_mul_f32 v[vgprValuC+74], s[sgprAlpha], v[vgprValuC+74] // *= alpha
v_mul_f32 v[vgprValuC+75], s[sgprAlpha], v[vgprValuC+75] // *= alpha
v_mul_f32 v[vgprValuC+78], s[sgprAlpha], v[vgprValuC+78] // *= alpha
v_mul_f32 v[vgprValuC+79], s[sgprAlpha], v[vgprValuC+79] // *= alpha
v_mul_f32 v[vgprValuC+84], s[sgprAlpha], v[vgprValuC+84] // *= alpha
v_mul_f32 v[vgprValuC+85], s[sgprAlpha], v[vgprValuC+85] // *= alpha
v_mul_f32 v[vgprValuC+88], s[sgprAlpha], v[vgprValuC+88] // *= alpha
v_mul_f32 v[vgprValuC+89], s[sgprAlpha], v[vgprValuC+89] // *= alpha
s_waitcnt vmcnt(0)                                 // wait C

/* apply mask, calc new C and issue writes */
v_mov_b32 v7, 0xffff0000                           // mask for pack two bfloat16 element to 32bit
v_mov_b32 v8, 0x7fff0000                           // fp32 Nan
v_mov_b32 v9, 0x7fff                               // rounding bias for bfloat16
v_lshlrev_b32 v4, 16, v12                          // convert bf16 to fp32
_v_mac_f32 v[vgprValuC+14], v4, s[sgprBeta]        // finalSum = sum*alpha + C*beta
v_and_b32 v4, v12, v7                              // convert bf16 to fp32
_v_mac_f32 v[vgprValuC+15], v4, s[sgprBeta]        // finalSum = sum*alpha + C*beta
v_cmp_u_f32 s[54:55], v[vgprValuC+14], v[vgprValuC+14] // check Nan
v_bfe_u32 v6, v[vgprValuC+14], 16, 1               // Non-Nan case: store lsb of bf16
v_add3_u32 v6, v[vgprValuC+14], v6, v9             // Non-Nan case: add lsb and the increment for rounding
v_cndmask_b32 v[vgprValuC+14], v6, v8, s[54:55]    // 
v_lshrrev_b32 v[vgprValuC+14], 16, v[vgprValuC+14] // convert C to bf16
v_cmp_u_f32 s[54:55], v[vgprValuC+15], v[vgprValuC+15] // check Nan
v_bfe_u32 v6, v[vgprValuC+15], 16, 1               // Non-Nan case: store lsb of bf16
v_add3_u32 v6, v[vgprValuC+15], v6, v9             // Non-Nan case: add lsb and the increment for rounding
v_cndmask_b32 v[vgprValuC+15], v6, v8, s[54:55]    // 
v_and_or_b32 v14, v[vgprValuC+15], v7, v[vgprValuC+14] // pack two bf16 to dword
v_lshlrev_b32 v4, 16, v17                          // convert bf16 to fp32
_v_mac_f32 v[vgprValuC+18], v4, s[sgprBeta]        // finalSum = sum*alpha + C*beta
v_and_b32 v4, v17, v7                              // convert bf16 to fp32
_v_mac_f32 v[vgprValuC+19], v4, s[sgprBeta]        // finalSum = sum*alpha + C*beta
v_cmp_u_f32 s[54:55], v[vgprValuC+18], v[vgprValuC+18] // check Nan
v_bfe_u32 v6, v[vgprValuC+18], 16, 1               // Non-Nan case: store lsb of bf16
v_add3_u32 v6, v[vgprValuC+18], v6, v9             // Non-Nan case: add lsb and the increment for rounding
v_cndmask_b32 v[vgprValuC+18], v6, v8, s[54:55]    // 
v_lshrrev_b32 v[vgprValuC+18], 16, v[vgprValuC+18] // convert C to bf16
v_cmp_u_f32 s[54:55], v[vgprValuC+19], v[vgprValuC+19] // check Nan
v_bfe_u32 v6, v[vgprValuC+19], 16, 1               // Non-Nan case: store lsb of bf16
v_add3_u32 v6, v[vgprValuC+19], v6, v9             // Non-Nan case: add lsb and the increment for rounding
v_cndmask_b32 v[vgprValuC+19], v6, v8, s[54:55]    // 
v_and_or_b32 v18, v[vgprValuC+19], v7, v[vgprValuC+18] // pack two bf16 to dword
	;; [unrolled: 14-line block ×16, first 2 shown]
_buffer_store_b32 v14, v10, s[sgprSrdD:sgprSrdD+3], 0, offen, offset:0 // store D
_buffer_store_b32 v18, v13, s[sgprSrdD:sgprSrdD+3], 0, offen, offset:0 // store D
	;; [unrolled: 1-line block ×16, first 2 shown]
s_nop 0                                            // 1 wait state required when next inst writes vgprs held by previous dwordx4 store inst
s_branch label_GW_End_44                           // jump to end
label_GW_End_44:

label_0049:  /// KernelEnd
s_endpgm                                           // Kernel End

